;; amdgpu-corpus repo=ROCm/aiter kind=harvested arch=n/a opt=n/a

/root/src/amdgpu-assembly/repos/ROCm__aiter/hsa/gfx942/fmoe_2stages/fmoe_stage1_bf16_pertokenInt8_g1u1_16x384_pf3.co:	file format elf64-amdgpu

Disassembly of section .text:

0000000000002c00 <_ZN5aiter45fmoe_stage1_bf16_pertokenInt8_g1u1_16x384_pf3E>:
	s_and_b32 s1, s1, 0xffff                                   // 000000002C00: 8601FF01 0000FFFF
	s_load_dwordx2 s[8:9], s[0:1], 0x0                         // 000000002C08: C0060200 00000000
	s_load_dwordx2 s[20:21], s[0:1], 0x10                      // 000000002C10: C0060500 00000010
	s_load_dwordx2 s[24:25], s[0:1], 0x20                      // 000000002C18: C0060600 00000020
	s_load_dwordx2 s[48:49], s[0:1], 0x30                      // 000000002C20: C0060C00 00000030
	s_load_dwordx2 s[28:29], s[0:1], 0x40                      // 000000002C28: C0060700 00000040
	s_load_dwordx2 s[32:33], s[0:1], 0x50                      // 000000002C30: C0060800 00000050
	s_load_dwordx2 s[36:37], s[0:1], 0x60                      // 000000002C38: C0060900 00000060
	s_load_dwordx2 s[12:13], s[0:1], 0x70                      // 000000002C40: C0060300 00000070
	s_load_dwordx2 s[44:45], s[0:1], 0x80                      // 000000002C48: C0060B00 00000080
	s_mov_b32 s89, 0                                           // 000000002C50: BED90080
	s_load_dword s64, s[0:1], 0x90                             // 000000002C54: C0021000 00000090
	s_load_dword s65, s[0:1], 0xa0                             // 000000002C5C: C0021040 000000A0
	s_load_dword s66, s[0:1], 0xb0                             // 000000002C64: C0021080 000000B0
	s_load_dword s67, s[0:1], 0xc0                             // 000000002C6C: C00210C0 000000C0
	s_load_dword s68, s[0:1], 0xd0                             // 000000002C74: C0021100 000000D0
	s_load_dword s69, s[0:1], 0xe0                             // 000000002C7C: C0021140 000000E0
	s_load_dword s71, s[0:1], 0xf0                             // 000000002C84: C00211C0 000000F0
	s_load_dword s72, s[0:1], 0x100                            // 000000002C8C: C0021200 00000100
	s_load_dword s74, s[0:1], 0x110                            // 000000002C94: C0021280 00000110
	s_load_dword s76, s[0:1], 0x120                            // 000000002C9C: C0021300 00000120
	s_load_dword s56, s[0:1], 0x130                            // 000000002CA4: C0020E00 00000130
	s_load_dword s88, s[0:1], 0x140                            // 000000002CAC: C0021600 00000140
	s_load_dword s89, s[0:1], 0x150                            // 000000002CB4: C0021640 00000150
	v_lshrrev_b32_e32 v1, 10, v0                               // 000000002CBC: 2002008A
	v_lshrrev_b32_e32 v2, 10, v1                               // 000000002CC0: 2004028A
	v_and_b32_e32 v2, 0x3ff, v2                                // 000000002CC4: 260404FF 000003FF
	v_and_b32_e32 v1, 0x3ff, v1                                // 000000002CCC: 260202FF 000003FF
	v_and_b32_e32 v0, 0x3ff, v0                                // 000000002CD4: 260000FF 000003FF
	v_lshrrev_b32_e32 v3, 6, v0                                // 000000002CDC: 20060086
	v_and_b32_e32 v0, 63, v0                                   // 000000002CE0: 260000BF
	s_mov_b32 s2, s2                                           // 000000002CE4: BE820002
	s_mov_b32 s3, s3                                           // 000000002CE8: BE830003
	s_mov_b32 s4, s4                                           // 000000002CEC: BE840004
	v_readfirstlane_b32 s7, v3                                 // 000000002CF0: 7E0E0503
	s_waitcnt lgkmcnt(0)                                       // 000000002CF4: BF8CC07F
	s_and_b32 s49, s49, 0xffff                                 // 000000002CF8: 8631FF31 0000FFFF
	s_load_dword s48, s[48:49], 0x0                            // 000000002D00: C0020C18 00000000
	s_and_b32 s45, s45, 0xffff                                 // 000000002D08: 862DFF2D 0000FFFF
	s_and_b32 s9, s9, 0xffff                                   // 000000002D10: 8609FF09 0000FFFF
	s_mul_i32 s60, s66, s68                                    // 000000002D18: 923C4442
	s_mul_i32 s61, s66, 4                                      // 000000002D1C: 923D8442
	s_mov_b32 s22, s60                                         // 000000002D20: BE96003C
	s_mov_b32 s26, -16                                         // 000000002D24: BE9A00D0
	s_mov_b32 s30, s61                                         // 000000002D28: BE9E003D
	s_mov_b32 s14, 64                                          // 000000002D2C: BE8E00C0
	s_mov_b32 s38, -16                                         // 000000002D30: BEA600D0
	s_mov_b32 s10, -16                                         // 000000002D34: BE8A00D0
	s_mov_b32 s34, 0x600                                       // 000000002D38: BEA200FF 00000600
	s_mov_b32 s23, 0x20000                                     // 000000002D40: BE9700FF 00020000
	s_mov_b32 s27, 0x20000                                     // 000000002D48: BE9B00FF 00020000
	s_mov_b32 s31, 0x20000                                     // 000000002D50: BE9F00FF 00020000
	s_mov_b32 s35, 0x20000                                     // 000000002D58: BEA300FF 00020000
	s_mov_b32 s15, 0x20000                                     // 000000002D60: BE8F00FF 00020000
	s_mov_b32 s39, 0x20000                                     // 000000002D68: BEA700FF 00020000
	s_mov_b32 s11, 0x20000                                     // 000000002D70: BE8B00FF 00020000
	s_and_b32 s21, s21, 0xffff                                 // 000000002D78: 8615FF15 0000FFFF
	s_and_b32 s25, s25, 0xffff                                 // 000000002D80: 8619FF19 0000FFFF
	s_and_b32 s29, s29, 0xffff                                 // 000000002D88: 861DFF1D 0000FFFF
	s_and_b32 s33, s33, 0xffff                                 // 000000002D90: 8621FF21 0000FFFF
	s_and_b32 s13, s13, 0xffff                                 // 000000002D98: 860DFF0D 0000FFFF
	s_and_b32 s37, s37, 0xffff                                 // 000000002DA0: 8625FF25 0000FFFF
	s_or_b32 s21, s21, 0x40000                                 // 000000002DA8: 8715FF15 00040000
	s_or_b32 s25, s25, 0x40000                                 // 000000002DB0: 8719FF19 00040000
	s_or_b32 s29, s29, 0x40000                                 // 000000002DB8: 871DFF1D 00040000
	s_or_b32 s33, s33, 0x40000                                 // 000000002DC0: 8721FF21 00040000
	s_or_b32 s13, s13, 0x40000                                 // 000000002DC8: 870DFF0D 00040000
	s_or_b32 s37, s37, 0x40000                                 // 000000002DD0: 8725FF25 00040000
	v_accvgpr_write_b32 a159, 0                                // 000000002DD8: D3D9409F 18000080
	v_mov_b32_e32 v91, 0                                       // 000000002DE0: 7EB60280
	s_waitcnt lgkmcnt(0)                                       // 000000002DE4: BF8CC07F
	s_mul_i32 s60, s3, 16                                      // 000000002DE8: 923C9003
	s_cmp_lt_i32 s60, s48                                      // 000000002DEC: BF04303C
	s_cbranch_scc0 label_154E                                  // 000000002DF0: BF8414CE
	s_mov_b32 s80, 0                                           // 000000002DF4: BED00080
	s_lshr_b32 s81, s64, s88                                   // 000000002DF8: 8F515840
	s_mul_i32 s60, s3, 4                                       // 000000002DFC: 923C8403
	s_add_u32 s44, s60, s44                                    // 000000002E00: 802C2C3C
	s_addc_u32 s45, 0, s45                                     // 000000002E04: 822D2D80
	s_load_dword s5, s[44:45], 0x0                             // 000000002E08: C0020156 00000000
	s_mul_i32 s60, s3, 16                                      // 000000002E10: 923C9003
	s_mul_i32 s60, 4, s60                                      // 000000002E14: 923C3C84
	s_add_u32 s12, s60, s12                                    // 000000002E18: 800C0C3C
	s_addc_u32 s13, 0, s13                                     // 000000002E1C: 820D0D80
	v_and_b32_e32 v4, 15, v0                                   // 000000002E20: 2608008F
	v_lshlrev_b32_e32 v4, 2, v4                                // 000000002E24: 24080882
	buffer_load_dword v31, v4, s[12:15], 0 offen               // 000000002E28: E0501000 80031F04
	v_add_u32_e32 v4, 64, v4                                   // 000000002E30: 680808C0
	s_mul_i32 s60, 4, s7                                       // 000000002E34: 923C0784
	v_lshlrev_b32_e32 v4, 4, v0                                // 000000002E38: 24080084
	v_add_u32_e32 v4, s60, v4                                  // 000000002E3C: 6808083C
	buffer_load_dword v3, v4, s[12:15], 0 offen                // 000000002E40: E0501000 80030304
	v_mov_b32_e32 v44, 0                                       // 000000002E48: 7E580280
	v_mov_b32_e32 v68, 0                                       // 000000002E4C: 7E880280
	v_mov_b32_e32 v45, 0                                       // 000000002E50: 7E5A0280
	v_mov_b32_e32 v69, 0                                       // 000000002E54: 7E8A0280
	v_mov_b32_e32 v46, 0                                       // 000000002E58: 7E5C0280
	v_mov_b32_e32 v70, 0                                       // 000000002E5C: 7E8C0280
	v_mov_b32_e32 v47, 0                                       // 000000002E60: 7E5E0280
	v_mov_b32_e32 v71, 0                                       // 000000002E64: 7E8E0280
	v_mov_b32_e32 v48, 0                                       // 000000002E68: 7E600280
	v_mov_b32_e32 v72, 0                                       // 000000002E6C: 7E900280
	v_mov_b32_e32 v49, 0                                       // 000000002E70: 7E620280
	v_mov_b32_e32 v73, 0                                       // 000000002E74: 7E920280
	v_mov_b32_e32 v50, 0                                       // 000000002E78: 7E640280
	v_mov_b32_e32 v74, 0                                       // 000000002E7C: 7E940280
	v_mov_b32_e32 v51, 0                                       // 000000002E80: 7E660280
	v_mov_b32_e32 v75, 0                                       // 000000002E84: 7E960280
	v_mov_b32_e32 v52, 0                                       // 000000002E88: 7E680280
	v_mov_b32_e32 v76, 0                                       // 000000002E8C: 7E980280
	v_mov_b32_e32 v53, 0                                       // 000000002E90: 7E6A0280
	v_mov_b32_e32 v77, 0                                       // 000000002E94: 7E9A0280
	v_mov_b32_e32 v54, 0                                       // 000000002E98: 7E6C0280
	v_mov_b32_e32 v78, 0                                       // 000000002E9C: 7E9C0280
	v_mov_b32_e32 v55, 0                                       // 000000002EA0: 7E6E0280
	v_mov_b32_e32 v79, 0                                       // 000000002EA4: 7E9E0280
	v_mov_b32_e32 v56, 0                                       // 000000002EA8: 7E700280
	v_mov_b32_e32 v80, 0                                       // 000000002EAC: 7EA00280
	v_mov_b32_e32 v57, 0                                       // 000000002EB0: 7E720280
	v_mov_b32_e32 v81, 0                                       // 000000002EB4: 7EA20280
	v_mov_b32_e32 v58, 0                                       // 000000002EB8: 7E740280
	v_mov_b32_e32 v82, 0                                       // 000000002EBC: 7EA40280
	v_mov_b32_e32 v59, 0                                       // 000000002EC0: 7E760280
	v_mov_b32_e32 v83, 0                                       // 000000002EC4: 7EA60280
	v_mov_b32_e32 v60, 0                                       // 000000002EC8: 7E780280
	v_mov_b32_e32 v84, 0                                       // 000000002ECC: 7EA80280
	v_mov_b32_e32 v61, 0                                       // 000000002ED0: 7E7A0280
	v_mov_b32_e32 v85, 0                                       // 000000002ED4: 7EAA0280
	v_mov_b32_e32 v62, 0                                       // 000000002ED8: 7E7C0280
	v_mov_b32_e32 v86, 0                                       // 000000002EDC: 7EAC0280
	v_mov_b32_e32 v63, 0                                       // 000000002EE0: 7E7E0280
	v_mov_b32_e32 v87, 0                                       // 000000002EE4: 7EAE0280
	v_mov_b32_e32 v64, 0                                       // 000000002EE8: 7E800280
	v_mov_b32_e32 v88, 0                                       // 000000002EEC: 7EB00280
	v_mov_b32_e32 v65, 0                                       // 000000002EF0: 7E820280
	v_mov_b32_e32 v89, 0                                       // 000000002EF4: 7EB20280
	v_mov_b32_e32 v66, 0                                       // 000000002EF8: 7E840280
	v_mov_b32_e32 v90, 0                                       // 000000002EFC: 7EB40280
	v_mov_b32_e32 v67, 0                                       // 000000002F00: 7E860280
	v_mov_b32_e32 v91, 0                                       // 000000002F04: 7EB60280
	s_mul_i32 s60, s2, 0x300                                   // 000000002F08: 923CFF02 00000300
	s_cmp_eq_u32 s88, 0                                        // 000000002F10: BF068058
	s_cselect_b32 s61, 1, 2                                    // 000000002F14: 853D8281
	s_mul_i32 s60, s60, s61                                    // 000000002F18: 923C3D3C
	s_mov_b32 s90, s8                                          // 000000002F1C: BEDA0008
	s_mov_b32 s91, s9                                          // 000000002F20: BEDB0009
	s_add_u32 s8, s60, s8                                      // 000000002F24: 8008083C
	s_addc_u32 s9, 0, s9                                       // 000000002F28: 82090980
	v_lshrrev_b32_e32 v4, 4, v0                                // 000000002F2C: 20080084
	v_mul_lo_u32 v20, 34, v4                                   // 000000002F30: D2850014 000208A2
	v_and_b32_e32 v4, 15, v0                                   // 000000002F38: 2608008F
	v_mul_lo_u32 v5, 2, v4                                     // 000000002F3C: D2850005 00020882
	v_add_u32_e32 v20, v5, v20                                 // 000000002F44: 68282905
	s_mul_i32 s60, s7, 0x88                                    // 000000002F48: 923CFF07 00000088
	v_add_u32_e32 v20, s60, v20                                // 000000002F50: 6828283C
	v_lshlrev_b32_e32 v20, 2, v20                              // 000000002F54: 24282882
	v_and_b32_e32 v4, 31, v0                                   // 000000002F58: 2608009F
	v_lshrrev_b32_e32 v4, 1, v4                                // 000000002F5C: 20080881
	v_mul_lo_u32 v21, 34, v4                                   // 000000002F60: D2850015 000208A2
	v_lshrrev_b32_e32 v4, 5, v0                                // 000000002F68: 20080085
	v_mul_lo_u32 v4, 8, v4                                     // 000000002F6C: D2850004 00020888
	v_add_u32_e32 v21, v21, v4                                 // 000000002F74: 682A0915
	v_and_b32_e32 v5, 1, v0                                    // 000000002F78: 260A0081
	v_add_u32_e32 v21, v5, v21                                 // 000000002F7C: 682A2B05
	s_mul_i32 s60, s7, 2                                       // 000000002F80: 923C8207
	v_add_u32_e32 v21, s60, v21                                // 000000002F84: 682A2A3C
	v_lshlrev_b32_e32 v21, 2, v21                              // 000000002F88: 242A2A82
	s_mul_i32 s60, s7, 0x220                                   // 000000002F8C: 923CFF07 00000220
	s_add_u32 s48, 0, s60                                      // 000000002F94: 80303C80
	s_add_u32 s49, 0x880, s48                                  // 000000002F98: 803130FF 00000880
	s_add_u32 s50, 0x880, s49                                  // 000000002FA0: 803231FF 00000880
	v_lshrrev_b32_e32 v4, 4, v0                                // 000000002FA8: 20080084
	v_lshlrev_b32_e32 v5, 2, v4                                // 000000002FAC: 240A0882
	v_and_b32_e32 v4, 15, v0                                   // 000000002FB0: 2608008F
	v_lshrrev_b32_e32 v6, 2, v4                                // 000000002FB4: 200C0882
	v_lshlrev_b32_e32 v6, 5, v6                                // 000000002FB8: 240C0C85
	v_add_u32_e32 v5, v6, v5                                   // 000000002FBC: 680A0B06
	v_and_b32_e32 v4, 3, v0                                    // 000000002FC0: 26080083
	v_mul_u32_u24_e32 v6, 0x88, v4                             // 000000002FC4: 100C08FF 00000088
	v_add_u32_e32 v5, v6, v5                                   // 000000002FCC: 680A0B06
	v_lshlrev_b32_e32 v2, 2, v5                                // 000000002FD0: 24040A82
	s_waitcnt lgkmcnt(0)                                       // 000000002FD4: BF8CC07F
	s_mul_i32 s60, s2, 0x180                                   // 000000002FD8: 923CFF02 00000180
	s_mul_i32 s60, s60, s69                                    // 000000002FE0: 923C453C
	s_mul_i32 s61, s5, s72                                     // 000000002FE4: 923D4805
	s_add_u32 s60, s61, s60                                    // 000000002FE8: 803C3C3D
	s_add_u32 s24, s60, s24                                    // 000000002FEC: 8018183C
	s_addc_u32 s25, 0, s25                                     // 000000002FF0: 82191980
	s_lshr_b32 s60, s64, s88                                   // 000000002FF4: 8F3C5840
	s_mul_i32 s60, s4, s60                                     // 000000002FF8: 923C3C04
	s_lshr_b32 s60, s60, 7                                     // 000000002FFC: 8F3C873C
	s_mul_i32 s60, s60, 0x800                                  // 000000003000: 923CFF3C 00000800
	s_add_u32 s24, s60, s24                                    // 000000003008: 8018183C
	s_addc_u32 s25, 0, s25                                     // 00000000300C: 82191980
	s_lshr_b32 s60, s69, s88                                   // 000000003010: 8F3C5845
	s_mul_i32 s60, s4, s60                                     // 000000003014: 923C3C04
	s_add_u32 s20, s60, s20                                    // 000000003018: 8014143C
	s_addc_u32 s21, 0, s21                                     // 00000000301C: 82151580
	s_mul_i32 s60, s7, 16                                      // 000000003020: 923C9007
	s_mul_i32 s60, s60, s69                                    // 000000003024: 923C453C
	v_lshlrev_b32_e32 v37, 4, v0                               // 000000003028: 244A0084
	v_add_u32_e32 v37, s60, v37                                // 00000000302C: 684A4A3C
	s_mul_i32 s60, 64, s69                                     // 000000003030: 923C45C0
	v_add_u32_e32 v38, s60, v37                                // 000000003034: 684C4A3C
	v_add_u32_e32 v39, s60, v38                                // 000000003038: 684E4C3C
	v_add_u32_e32 v40, s60, v39                                // 00000000303C: 68504E3C
	v_add_u32_e32 v41, s60, v40                                // 000000003040: 6852503C
	v_add_u32_e32 v42, s60, v41                                // 000000003044: 6854523C
	s_mov_b32 s84, s24                                         // 000000003048: BED40018
	s_mov_b32 s85, s25                                         // 00000000304C: BED50019
	s_mov_b32 s86, s26                                         // 000000003050: BED6001A
	s_mov_b32 s87, s27                                         // 000000003054: BED7001B
	s_mul_i32 s60, s69, s65                                    // 000000003058: 923C4145
	s_add_u32 s84, s60, s84                                    // 00000000305C: 8054543C
	s_addc_u32 s85, 0, s85                                     // 000000003060: 82555580
	v_lshrrev_b32_e32 v4, 4, v0                                // 000000003064: 20080084
	v_lshlrev_b32_e32 v5, 2, v4                                // 000000003068: 240A0882
	v_and_b32_e32 v4, 15, v0                                   // 00000000306C: 2608008F
	v_lshrrev_b32_e32 v6, 2, v4                                // 000000003070: 200C0882
	v_lshlrev_b32_e32 v6, 6, v6                                // 000000003074: 240C0C86
	v_add_u32_e32 v5, v6, v5                                   // 000000003078: 680A0B06
	v_and_b32_e32 v4, 3, v0                                    // 00000000307C: 26080083
	v_add_u32_e32 v5, v4, v5                                   // 000000003080: 680A0B04
	v_lshlrev_b32_e32 v22, 2, v5                               // 000000003084: 242C0A82
	v_add_u32_e32 v23, 0x400, v22                              // 000000003088: 682E2CFF 00000400
	s_mul_i32 s60, s7, 16                                      // 000000003090: 923C9007
	s_mul_i32 s60, s60, 4                                      // 000000003094: 923C843C
	v_add_u32_e32 v22, s60, v22                                // 000000003098: 682C2C3C
	v_add_u32_e32 v23, s60, v23                                // 00000000309C: 682E2E3C
	s_mul_i32 s60, s2, 0x180                                   // 0000000030A0: 923CFF02 00000180
	s_mul_i32 s60, s60, 4                                      // 0000000030A8: 923C843C
	s_mul_i32 s61, s5, s74                                     // 0000000030AC: 923D4A05
	s_add_u32 s61, s61, s60                                    // 0000000030B0: 803D3C3D
	s_add_u32 s32, s61, s32                                    // 0000000030B4: 8020203D
	s_addc_u32 s33, 0, s33                                     // 0000000030B8: 82212180
	s_mov_b32 s57, 0x80                                        // 0000000030BC: BEB900FF 00000080
	s_mov_b32 s58, 0x800                                       // 0000000030C4: BEBA00FF 00000800
	s_mov_b32 s83, s58                                         // 0000000030CC: BED3003A
	s_mov_b32 s52, 0x7060302                                   // 0000000030D0: BEB400FF 07060302
	s_mov_b32 s53, 0x400                                       // 0000000030D8: BEB500FF 00000400
	s_mov_b32 s54, 0x40100                                     // 0000000030E0: BEB600FF 00040100
	s_mov_b32 s55, 0x4020100                                   // 0000000030E8: BEB700FF 04020100
	s_mov_b32 s6, 0x3fb8aa3b                                   // 0000000030F0: BE8600FF 3FB8AA3B
	s_mov_b32 s78, 0xbd92220c                                  // 0000000030F8: BECE00FF BD92220C
	s_mov_b32 s79, 0xbd92220c                                  // 000000003100: BECF00FF BD92220C
	s_mov_b32 m0, s48                                          // 000000003108: BEFC0030
	v_mov_b32_e32 v1, 0xbfcc4231                               // 00000000310C: 7E0202FF BFCC4231
	v_mov_b32_e32 v17, 0xffff0000                              // 000000003114: 7E2202FF FFFF0000
	v_mov_b32_e32 v18, 0x7fff0000                              // 00000000311C: 7E2402FF 7FFF0000
	v_mov_b32_e32 v19, 0x7fff                                  // 000000003124: 7E2602FF 00007FFF
	s_waitcnt vmcnt(0) expcnt(0) lgkmcnt(0)                    // 00000000312C: BF8C0000
	v_lshrrev_b32_e32 v4, 5, v0                                // 000000003130: 20080085
	v_xor_b32_e32 v5, 1, v4                                    // 000000003134: 2A0A0881
	v_readlane_b32 s82, v3, 0                                  // 000000003138: D2890052 00010103
	s_and_b32 s82, s82, 0xffffff                               // 000000003140: 8652FF52 00FFFFFF
	v_mul_lo_u32 v6, v5, s82                                   // 000000003148: D2850006 0000A505
	v_readlane_b32 s82, v3, 1                                  // 000000003150: D2890052 00010303
	s_and_b32 s82, s82, 0xffffff                               // 000000003158: 8652FF52 00FFFFFF
	v_mul_lo_u32 v7, v4, s82                                   // 000000003160: D2850007 0000A504
	v_add_u32_e32 v35, v6, v7                                  // 000000003168: 68460F06
	v_mul_lo_u32 v35, v35, s68                                 // 00000000316C: D2850023 00008923
	v_readlane_b32 s82, v3, 2                                  // 000000003174: D2890052 00010503
	s_and_b32 s82, s82, 0xffffff                               // 00000000317C: 8652FF52 00FFFFFF
	v_mul_lo_u32 v6, v5, s82                                   // 000000003184: D2850006 0000A505
	v_readlane_b32 s82, v3, 3                                  // 00000000318C: D2890052 00010703
	s_and_b32 s82, s82, 0xffffff                               // 000000003194: 8652FF52 00FFFFFF
	v_mul_lo_u32 v7, v4, s82                                   // 00000000319C: D2850007 0000A504
	v_add_u32_e32 v36, v6, v7                                  // 0000000031A4: 68480F06
	v_mul_lo_u32 v36, v36, s68                                 // 0000000031A8: D2850024 00008924
	v_and_b32_e32 v4, 31, v0                                   // 0000000031B0: 2608009F
	v_lshlrev_b32_e32 v4, 2, v4                                // 0000000031B4: 24080882
	v_add_u32_e32 v35, v35, v4                                 // 0000000031B8: 68460923
	v_add_u32_e32 v36, v36, v4                                 // 0000000031BC: 68480924
	v_and_b32_e32 v31, 0xffffff, v31                           // 0000000031C0: 263E3EFF 00FFFFFF
	v_lshlrev_b32_e32 v31, 2, v31                              // 0000000031C8: 243E3E82
	s_lshl_b32 s3, s66, 2                                      // 0000000031CC: 8E038242
	buffer_load_dword v32, v31, s[28:31], 0 offen              // 0000000031D0: E0501000 8007201F
	buffer_load_dword v25, v22, s[32:35], 0 offen              // 0000000031D8: E0501000 80081916
	buffer_load_dword v26, v23, s[32:35], 0 offen              // 0000000031E0: E0501000 80081A17
	s_mul_i32 s60, 4, s65                                      // 0000000031E8: 923C4184
	s_add_u32 s32, s60, s32                                    // 0000000031EC: 8020203C
	s_addc_u32 s33, 0, s33                                     // 0000000031F0: 82212180
	buffer_load_dword v28, v22, s[32:35], 0 offen              // 0000000031F4: E0501000 80081C16
	buffer_load_dword v29, v23, s[32:35], 0 offen              // 0000000031FC: E0501000 80081D17
	buffer_load_dword v35, s[20:23], 0 offen lds               // 000000003204: E0511000 80050023
	s_add_u32 m0, 0x100, s48                                   // 00000000320C: 807C30FF 00000100
	buffer_load_dword v36, s[20:23], 0 offen lds               // 000000003214: E0511000 80050024
	s_add_u32 m0, 0, s49                                       // 00000000321C: 807C3180
	s_add_u32 s20, s57, s20                                    // 000000003220: 80141439
	s_addc_u32 s21, 0, s21                                     // 000000003224: 82151580
	buffer_load_dwordx4 a[16:19], v37, s[24:27], 0 offen       // 000000003228: E05C1000 80861025
	buffer_load_dwordx4 a[20:23], v37, s[24:27], 0 offen offset:1024// 000000003230: E05C1400 80861425
	buffer_load_dwordx4 a[24:27], v38, s[24:27], 0 offen       // 000000003238: E05C1000 80861826
	buffer_load_dwordx4 a[28:31], v38, s[24:27], 0 offen offset:1024// 000000003240: E05C1400 80861C26
	buffer_load_dwordx4 a[32:35], v39, s[24:27], 0 offen       // 000000003248: E05C1000 80862027
	buffer_load_dwordx4 a[36:39], v39, s[24:27], 0 offen offset:1024// 000000003250: E05C1400 80862427
	buffer_load_dwordx4 a[40:43], v40, s[24:27], 0 offen       // 000000003258: E05C1000 80862828
	buffer_load_dwordx4 a[44:47], v40, s[24:27], 0 offen offset:1024// 000000003260: E05C1400 80862C28
	buffer_load_dwordx4 a[48:51], v41, s[24:27], 0 offen       // 000000003268: E05C1000 80863029
	buffer_load_dwordx4 a[52:55], v41, s[24:27], 0 offen offset:1024// 000000003270: E05C1400 80863429
	buffer_load_dwordx4 a[56:59], v42, s[24:27], 0 offen       // 000000003278: E05C1000 8086382A
	buffer_load_dwordx4 a[60:63], v42, s[24:27], 0 offen offset:1024// 000000003280: E05C1400 80863C2A
	s_add_u32 s24, s58, s24                                    // 000000003288: 8018183A
	s_addc_u32 s25, 0, s25                                     // 00000000328C: 82191980
	buffer_load_dword v35, s[20:23], 0 offen lds               // 000000003290: E0511000 80050023
	s_add_u32 m0, 0x100, s49                                   // 000000003298: 807C31FF 00000100
	buffer_load_dword v36, s[20:23], 0 offen lds               // 0000000032A0: E0511000 80050024
	s_add_u32 m0, 0, s50                                       // 0000000032A8: 807C3280
	s_add_u32 s20, s57, s20                                    // 0000000032AC: 80141439
	s_addc_u32 s21, 0, s21                                     // 0000000032B0: 82151580
	buffer_load_dwordx4 a[64:67], v37, s[84:87], 0 offen       // 0000000032B4: E05C1000 80954025
	buffer_load_dwordx4 a[68:71], v37, s[84:87], 0 offen offset:1024// 0000000032BC: E05C1400 80954425
	buffer_load_dwordx4 a[72:75], v38, s[84:87], 0 offen       // 0000000032C4: E05C1000 80954826
	buffer_load_dwordx4 a[76:79], v38, s[84:87], 0 offen offset:1024// 0000000032CC: E05C1400 80954C26
	buffer_load_dwordx4 a[80:83], v39, s[84:87], 0 offen       // 0000000032D4: E05C1000 80955027
	buffer_load_dwordx4 a[84:87], v39, s[84:87], 0 offen offset:1024// 0000000032DC: E05C1400 80955427
	buffer_load_dwordx4 a[88:91], v40, s[84:87], 0 offen       // 0000000032E4: E05C1000 80955828
	buffer_load_dwordx4 a[92:95], v40, s[84:87], 0 offen offset:1024// 0000000032EC: E05C1400 80955C28
	buffer_load_dwordx4 a[96:99], v41, s[84:87], 0 offen       // 0000000032F4: E05C1000 80956029
	buffer_load_dwordx4 a[100:103], v41, s[84:87], 0 offen offset:1024// 0000000032FC: E05C1400 80956429
	buffer_load_dwordx4 a[104:107], v42, s[84:87], 0 offen     // 000000003304: E05C1000 8095682A
	buffer_load_dwordx4 a[108:111], v42, s[84:87], 0 offen offset:1024// 00000000330C: E05C1400 80956C2A
	s_add_u32 s84, s83, s84                                    // 000000003314: 80545453
	s_addc_u32 s85, 0, s85                                     // 000000003318: 82555580
	s_waitcnt vmcnt(26)                                        // 00000000331C: BF8C4F7A
	s_barrier                                                  // 000000003320: BF8A0000
	ds_read_b128 a[0:3], v2                                    // 000000003324: DBFE0000 00000002
	ds_read_b128 a[4:7], v2 offset:64                          // 00000000332C: DBFE0040 04000002
	s_cmp_lt_i32 s7, 2                                         // 000000003334: BF048207
	s_cbranch_scc0 label_0B90                                  // 000000003338: BF8409BE

000000000000333c <label_01CF>:
	s_waitcnt vmcnt(14) lgkmcnt(0)                             // 00000000333C: BF8C007E
	v_mfma_i32_16x16x32_i8 v[44:47], a[16:17], a[0:1], v[44:47]// 000000003340: D3D7002C 1CB20110
	v_mfma_i32_16x16x32_i8 v[44:47], a[18:19], a[2:3], v[44:47]// 000000003348: D3D7002C 1CB20512
	buffer_load_dwordx4 a[112:115], v37, s[24:27], 0 offen     // 000000003350: E05C1000 80867025
	v_mfma_i32_16x16x32_i8 v[44:47], a[20:21], a[4:5], v[44:47]// 000000003358: D3D7002C 1CB20914
	v_mfma_i32_16x16x32_i8 v[44:47], a[22:23], a[6:7], v[44:47]// 000000003360: D3D7002C 1CB20D16
	v_mfma_i32_16x16x32_i8 v[48:51], a[24:25], a[0:1], v[48:51]// 000000003368: D3D70030 1CC20118
	v_mfma_i32_16x16x32_i8 v[48:51], a[26:27], a[2:3], v[48:51]// 000000003370: D3D70030 1CC2051A
	buffer_load_dwordx4 a[116:119], v37, s[24:27], 0 offen offset:1024// 000000003378: E05C1400 80867425
	v_mfma_i32_16x16x32_i8 v[48:51], a[28:29], a[4:5], v[48:51]// 000000003380: D3D70030 1CC2091C
	v_mfma_i32_16x16x32_i8 v[48:51], a[30:31], a[6:7], v[48:51]// 000000003388: D3D70030 1CC20D1E
	v_mfma_i32_16x16x32_i8 v[52:55], a[32:33], a[0:1], v[52:55]// 000000003390: D3D70034 1CD20120
	v_mfma_i32_16x16x32_i8 v[52:55], a[34:35], a[2:3], v[52:55]// 000000003398: D3D70034 1CD20522
	buffer_load_dwordx4 a[120:123], v38, s[24:27], 0 offen     // 0000000033A0: E05C1000 80867826
	v_mfma_i32_16x16x32_i8 v[52:55], a[36:37], a[4:5], v[52:55]// 0000000033A8: D3D70034 1CD20924
	v_mfma_i32_16x16x32_i8 v[52:55], a[38:39], a[6:7], v[52:55]// 0000000033B0: D3D70034 1CD20D26
	v_mfma_i32_16x16x32_i8 v[56:59], a[40:41], a[0:1], v[56:59]// 0000000033B8: D3D70038 1CE20128
	v_mfma_i32_16x16x32_i8 v[56:59], a[42:43], a[2:3], v[56:59]// 0000000033C0: D3D70038 1CE2052A
	buffer_load_dwordx4 a[124:127], v38, s[24:27], 0 offen offset:1024// 0000000033C8: E05C1400 80867C26
	v_mfma_i32_16x16x32_i8 v[56:59], a[44:45], a[4:5], v[56:59]// 0000000033D0: D3D70038 1CE2092C
	v_mfma_i32_16x16x32_i8 v[56:59], a[46:47], a[6:7], v[56:59]// 0000000033D8: D3D70038 1CE20D2E
	v_mfma_i32_16x16x32_i8 v[60:63], a[48:49], a[0:1], v[60:63]// 0000000033E0: D3D7003C 1CF20130
	v_mfma_i32_16x16x32_i8 v[60:63], a[50:51], a[2:3], v[60:63]// 0000000033E8: D3D7003C 1CF20532
	buffer_load_dwordx4 a[128:131], v39, s[24:27], 0 offen     // 0000000033F0: E05C1000 80868027
	v_mfma_i32_16x16x32_i8 v[60:63], a[52:53], a[4:5], v[60:63]// 0000000033F8: D3D7003C 1CF20934
	v_mfma_i32_16x16x32_i8 v[60:63], a[54:55], a[6:7], v[60:63]// 000000003400: D3D7003C 1CF20D36
	v_mfma_i32_16x16x32_i8 v[64:67], a[56:57], a[0:1], v[64:67]// 000000003408: D3D70040 1D020138
	v_mfma_i32_16x16x32_i8 v[64:67], a[58:59], a[2:3], v[64:67]// 000000003410: D3D70040 1D02053A
	buffer_load_dwordx4 a[132:135], v39, s[24:27], 0 offen offset:1024// 000000003418: E05C1400 80868427
	v_mfma_i32_16x16x32_i8 v[64:67], a[60:61], a[4:5], v[64:67]// 000000003420: D3D70040 1D02093C
	v_mfma_i32_16x16x32_i8 v[64:67], a[62:63], a[6:7], v[64:67]// 000000003428: D3D70040 1D020D3E
	buffer_load_dwordx4 a[136:139], v40, s[24:27], 0 offen     // 000000003430: E05C1000 80868828
	buffer_load_dwordx4 a[140:143], v40, s[24:27], 0 offen offset:1024// 000000003438: E05C1400 80868C28
	buffer_load_dwordx4 a[144:147], v41, s[24:27], 0 offen     // 000000003440: E05C1000 80869029
	buffer_load_dwordx4 a[148:151], v41, s[24:27], 0 offen offset:1024// 000000003448: E05C1400 80869429
	buffer_load_dwordx4 a[152:155], v42, s[24:27], 0 offen     // 000000003450: E05C1000 8086982A
	buffer_load_dwordx4 a[156:159], v42, s[24:27], 0 offen offset:1024// 000000003458: E05C1400 80869C2A
	buffer_load_dword v35, s[20:23], 0 offen lds               // 000000003460: E0511000 80050023
	s_add_u32 m0, 0x100, s50                                   // 000000003468: 807C32FF 00000100
	buffer_load_dword v36, s[20:23], 0 offen lds               // 000000003470: E0511000 80050024
	s_add_u32 m0, 0, s48                                       // 000000003478: 807C3080
	s_waitcnt vmcnt(14)                                        // 00000000347C: BF8C0F7E
	s_barrier                                                  // 000000003480: BF8A0000
	v_mfma_i32_16x16x32_i8 v[68:71], a[64:65], a[0:1], v[68:71]// 000000003484: D3D70044 1D120140
	v_mfma_i32_16x16x32_i8 v[68:71], a[66:67], a[2:3], v[68:71]// 00000000348C: D3D70044 1D120542
	buffer_load_dwordx4 a[16:19], v37, s[84:87], 0 offen       // 000000003494: E05C1000 80951025
	v_mfma_i32_16x16x32_i8 v[68:71], a[68:69], a[4:5], v[68:71]// 00000000349C: D3D70044 1D120944
	v_mfma_i32_16x16x32_i8 v[68:71], a[70:71], a[6:7], v[68:71]// 0000000034A4: D3D70044 1D120D46
	ds_read_b128 a[8:11], v2 offset:2176                       // 0000000034AC: DBFE0880 08000002
	ds_read_b128 a[12:15], v2 offset:2240                      // 0000000034B4: DBFE08C0 0C000002
	v_mfma_i32_16x16x32_i8 v[72:75], a[72:73], a[0:1], v[72:75]// 0000000034BC: D3D70048 1D220148
	v_mfma_i32_16x16x32_i8 v[72:75], a[74:75], a[2:3], v[72:75]// 0000000034C4: D3D70048 1D22054A
	buffer_load_dwordx4 a[20:23], v37, s[84:87], 0 offen offset:1024// 0000000034CC: E05C1400 80951425
	v_mfma_i32_16x16x32_i8 v[72:75], a[76:77], a[4:5], v[72:75]// 0000000034D4: D3D70048 1D22094C
	v_mfma_i32_16x16x32_i8 v[72:75], a[78:79], a[6:7], v[72:75]// 0000000034DC: D3D70048 1D220D4E
	v_mfma_i32_16x16x32_i8 v[76:79], a[80:81], a[0:1], v[76:79]// 0000000034E4: D3D7004C 1D320150
	v_mfma_i32_16x16x32_i8 v[76:79], a[82:83], a[2:3], v[76:79]// 0000000034EC: D3D7004C 1D320552
	buffer_load_dwordx4 a[24:27], v38, s[84:87], 0 offen       // 0000000034F4: E05C1000 80951826
	v_mfma_i32_16x16x32_i8 v[76:79], a[84:85], a[4:5], v[76:79]// 0000000034FC: D3D7004C 1D320954
	v_mfma_i32_16x16x32_i8 v[76:79], a[86:87], a[6:7], v[76:79]// 000000003504: D3D7004C 1D320D56
	v_mfma_i32_16x16x32_i8 v[80:83], a[88:89], a[0:1], v[80:83]// 00000000350C: D3D70050 1D420158
	v_mfma_i32_16x16x32_i8 v[80:83], a[90:91], a[2:3], v[80:83]// 000000003514: D3D70050 1D42055A
	buffer_load_dwordx4 a[28:31], v38, s[84:87], 0 offen offset:1024// 00000000351C: E05C1400 80951C26
	v_mfma_i32_16x16x32_i8 v[80:83], a[92:93], a[4:5], v[80:83]// 000000003524: D3D70050 1D42095C
	v_mfma_i32_16x16x32_i8 v[80:83], a[94:95], a[6:7], v[80:83]// 00000000352C: D3D70050 1D420D5E
	v_mfma_i32_16x16x32_i8 v[84:87], a[96:97], a[0:1], v[84:87]// 000000003534: D3D70054 1D520160
	s_add_u32 s60, 0x180, s80                                  // 00000000353C: 803C50FF 00000180
	s_cmp_lt_u32 s60, s81                                      // 000000003544: BF0A513C
	s_cselect_b32 s57, s57, 0                                  // 000000003548: 85398039
	v_mfma_i32_16x16x32_i8 v[84:87], a[98:99], a[2:3], v[84:87]// 00000000354C: D3D70054 1D520562
	buffer_load_dwordx4 a[32:35], v39, s[84:87], 0 offen       // 000000003554: E05C1000 80952027
	s_add_u32 s60, 0x100, s80                                  // 00000000355C: 803C50FF 00000100
	s_cmp_lt_u32 s60, s81                                      // 000000003564: BF0A513C
	s_cselect_b32 s58, s58, 0                                  // 000000003568: 853A803A
	v_mfma_i32_16x16x32_i8 v[84:87], a[100:101], a[4:5], v[84:87]// 00000000356C: D3D70054 1D520964
	s_add_u32 s60, 0x100, s80                                  // 000000003574: 803C50FF 00000100
	s_cmp_lt_u32 s60, s81                                      // 00000000357C: BF0A513C
	s_cselect_b32 s83, s83, 0                                  // 000000003580: 85538053
	v_mfma_i32_16x16x32_i8 v[84:87], a[102:103], a[6:7], v[84:87]// 000000003584: D3D70054 1D520D66
	s_add_u32 s24, s58, s24                                    // 00000000358C: 8018183A
	s_addc_u32 s25, 0, s25                                     // 000000003590: 82191980
	v_mfma_i32_16x16x32_i8 v[88:91], a[104:105], a[0:1], v[88:91]// 000000003594: D3D70058 1D620168
	s_add_u32 s20, s57, s20                                    // 00000000359C: 80141439
	s_addc_u32 s21, 0, s21                                     // 0000000035A0: 82151580
	v_mfma_i32_16x16x32_i8 v[88:91], a[106:107], a[2:3], v[88:91]// 0000000035A4: D3D70058 1D62056A
	buffer_load_dwordx4 a[36:39], v39, s[84:87], 0 offen offset:1024// 0000000035AC: E05C1400 80952427
	v_mfma_i32_16x16x32_i8 v[88:91], a[108:109], a[4:5], v[88:91]// 0000000035B4: D3D70058 1D62096C
	v_mfma_i32_16x16x32_i8 v[88:91], a[110:111], a[6:7], v[88:91]// 0000000035BC: D3D70058 1D620D6E
	buffer_load_dwordx4 a[40:43], v40, s[84:87], 0 offen       // 0000000035C4: E05C1000 80952828
	buffer_load_dwordx4 a[44:47], v40, s[84:87], 0 offen offset:1024// 0000000035CC: E05C1400 80952C28
	buffer_load_dwordx4 a[48:51], v41, s[84:87], 0 offen       // 0000000035D4: E05C1000 80953029
	buffer_load_dwordx4 a[52:55], v41, s[84:87], 0 offen offset:1024// 0000000035DC: E05C1400 80953429
	buffer_load_dwordx4 a[56:59], v42, s[84:87], 0 offen       // 0000000035E4: E05C1000 8095382A
	buffer_load_dwordx4 a[60:63], v42, s[84:87], 0 offen offset:1024// 0000000035EC: E05C1400 80953C2A
	s_add_u32 s84, s83, s84                                    // 0000000035F4: 80545453
	s_addc_u32 s85, 0, s85                                     // 0000000035F8: 82555580
	s_addk_i32 s80, 0x80                                       // 0000000035FC: B7500080
	s_cmp_lt_i32 s80, s81                                      // 000000003600: BF045150
	s_cbranch_scc0 label_0602                                  // 000000003604: BF840380
	s_waitcnt vmcnt(14) lgkmcnt(0)                             // 000000003608: BF8C007E
	v_mfma_i32_16x16x32_i8 v[44:47], a[112:113], a[8:9], v[44:47]// 00000000360C: D3D7002C 1CB21170
	v_mfma_i32_16x16x32_i8 v[44:47], a[114:115], a[10:11], v[44:47]// 000000003614: D3D7002C 1CB21572
	buffer_load_dwordx4 a[64:67], v37, s[24:27], 0 offen       // 00000000361C: E05C1000 80864025
	v_mfma_i32_16x16x32_i8 v[44:47], a[116:117], a[12:13], v[44:47]// 000000003624: D3D7002C 1CB21974
	v_mfma_i32_16x16x32_i8 v[44:47], a[118:119], a[14:15], v[44:47]// 00000000362C: D3D7002C 1CB21D76
	v_mfma_i32_16x16x32_i8 v[48:51], a[120:121], a[8:9], v[48:51]// 000000003634: D3D70030 1CC21178
	v_mfma_i32_16x16x32_i8 v[48:51], a[122:123], a[10:11], v[48:51]// 00000000363C: D3D70030 1CC2157A
	buffer_load_dwordx4 a[68:71], v37, s[24:27], 0 offen offset:1024// 000000003644: E05C1400 80864425
	v_mfma_i32_16x16x32_i8 v[48:51], a[124:125], a[12:13], v[48:51]// 00000000364C: D3D70030 1CC2197C
	v_mfma_i32_16x16x32_i8 v[48:51], a[126:127], a[14:15], v[48:51]// 000000003654: D3D70030 1CC21D7E
	v_mfma_i32_16x16x32_i8 v[52:55], a[128:129], a[8:9], v[52:55]// 00000000365C: D3D70034 1CD21180
	v_mfma_i32_16x16x32_i8 v[52:55], a[130:131], a[10:11], v[52:55]// 000000003664: D3D70034 1CD21582
	buffer_load_dwordx4 a[72:75], v38, s[24:27], 0 offen       // 00000000366C: E05C1000 80864826
	v_mfma_i32_16x16x32_i8 v[52:55], a[132:133], a[12:13], v[52:55]// 000000003674: D3D70034 1CD21984
	v_mfma_i32_16x16x32_i8 v[52:55], a[134:135], a[14:15], v[52:55]// 00000000367C: D3D70034 1CD21D86
	v_mfma_i32_16x16x32_i8 v[56:59], a[136:137], a[8:9], v[56:59]// 000000003684: D3D70038 1CE21188
	v_mfma_i32_16x16x32_i8 v[56:59], a[138:139], a[10:11], v[56:59]// 00000000368C: D3D70038 1CE2158A
	buffer_load_dwordx4 a[76:79], v38, s[24:27], 0 offen offset:1024// 000000003694: E05C1400 80864C26
	v_mfma_i32_16x16x32_i8 v[56:59], a[140:141], a[12:13], v[56:59]// 00000000369C: D3D70038 1CE2198C
	v_mfma_i32_16x16x32_i8 v[56:59], a[142:143], a[14:15], v[56:59]// 0000000036A4: D3D70038 1CE21D8E
	v_mfma_i32_16x16x32_i8 v[60:63], a[144:145], a[8:9], v[60:63]// 0000000036AC: D3D7003C 1CF21190
	v_mfma_i32_16x16x32_i8 v[60:63], a[146:147], a[10:11], v[60:63]// 0000000036B4: D3D7003C 1CF21592
	buffer_load_dwordx4 a[80:83], v39, s[24:27], 0 offen       // 0000000036BC: E05C1000 80865027
	v_mfma_i32_16x16x32_i8 v[60:63], a[148:149], a[12:13], v[60:63]// 0000000036C4: D3D7003C 1CF21994
	v_mfma_i32_16x16x32_i8 v[60:63], a[150:151], a[14:15], v[60:63]// 0000000036CC: D3D7003C 1CF21D96
	v_mfma_i32_16x16x32_i8 v[64:67], a[152:153], a[8:9], v[64:67]// 0000000036D4: D3D70040 1D021198
	v_mfma_i32_16x16x32_i8 v[64:67], a[154:155], a[10:11], v[64:67]// 0000000036DC: D3D70040 1D02159A
	buffer_load_dwordx4 a[84:87], v39, s[24:27], 0 offen offset:1024// 0000000036E4: E05C1400 80865427
	v_mfma_i32_16x16x32_i8 v[64:67], a[156:157], a[12:13], v[64:67]// 0000000036EC: D3D70040 1D02199C
	v_mfma_i32_16x16x32_i8 v[64:67], a[158:159], a[14:15], v[64:67]// 0000000036F4: D3D70040 1D021D9E
	buffer_load_dwordx4 a[88:91], v40, s[24:27], 0 offen       // 0000000036FC: E05C1000 80865828
	buffer_load_dwordx4 a[92:95], v40, s[24:27], 0 offen offset:1024// 000000003704: E05C1400 80865C28
	buffer_load_dwordx4 a[96:99], v41, s[24:27], 0 offen       // 00000000370C: E05C1000 80866029
	buffer_load_dwordx4 a[100:103], v41, s[24:27], 0 offen offset:1024// 000000003714: E05C1400 80866429
	buffer_load_dwordx4 a[104:107], v42, s[24:27], 0 offen     // 00000000371C: E05C1000 8086682A
	buffer_load_dwordx4 a[108:111], v42, s[24:27], 0 offen offset:1024// 000000003724: E05C1400 80866C2A
	buffer_load_dword v35, s[20:23], 0 offen lds               // 00000000372C: E0511000 80050023
	s_add_u32 m0, 0x100, s48                                   // 000000003734: 807C30FF 00000100
	buffer_load_dword v36, s[20:23], 0 offen lds               // 00000000373C: E0511000 80050024
	s_add_u32 m0, 0, s49                                       // 000000003744: 807C3180
	s_waitcnt vmcnt(14)                                        // 000000003748: BF8C0F7E
	s_barrier                                                  // 00000000374C: BF8A0000
	v_mfma_i32_16x16x32_i8 v[68:71], a[16:17], a[8:9], v[68:71]// 000000003750: D3D70044 1D121110
	v_mfma_i32_16x16x32_i8 v[68:71], a[18:19], a[10:11], v[68:71]// 000000003758: D3D70044 1D121512
	buffer_load_dwordx4 a[112:115], v37, s[84:87], 0 offen     // 000000003760: E05C1000 80957025
	v_mfma_i32_16x16x32_i8 v[68:71], a[20:21], a[12:13], v[68:71]// 000000003768: D3D70044 1D121914
	v_mfma_i32_16x16x32_i8 v[68:71], a[22:23], a[14:15], v[68:71]// 000000003770: D3D70044 1D121D16
	ds_read_b128 a[0:3], v2 offset:4352                        // 000000003778: DBFE1100 00000002
	ds_read_b128 a[4:7], v2 offset:4416                        // 000000003780: DBFE1140 04000002
	v_mfma_i32_16x16x32_i8 v[72:75], a[24:25], a[8:9], v[72:75]// 000000003788: D3D70048 1D221118
	v_mfma_i32_16x16x32_i8 v[72:75], a[26:27], a[10:11], v[72:75]// 000000003790: D3D70048 1D22151A
	buffer_load_dwordx4 a[116:119], v37, s[84:87], 0 offen offset:1024// 000000003798: E05C1400 80957425
	v_mfma_i32_16x16x32_i8 v[72:75], a[28:29], a[12:13], v[72:75]// 0000000037A0: D3D70048 1D22191C
	v_mfma_i32_16x16x32_i8 v[72:75], a[30:31], a[14:15], v[72:75]// 0000000037A8: D3D70048 1D221D1E
	v_mfma_i32_16x16x32_i8 v[76:79], a[32:33], a[8:9], v[76:79]// 0000000037B0: D3D7004C 1D321120
	v_mfma_i32_16x16x32_i8 v[76:79], a[34:35], a[10:11], v[76:79]// 0000000037B8: D3D7004C 1D321522
	buffer_load_dwordx4 a[120:123], v38, s[84:87], 0 offen     // 0000000037C0: E05C1000 80957826
	v_mfma_i32_16x16x32_i8 v[76:79], a[36:37], a[12:13], v[76:79]// 0000000037C8: D3D7004C 1D321924
	v_mfma_i32_16x16x32_i8 v[76:79], a[38:39], a[14:15], v[76:79]// 0000000037D0: D3D7004C 1D321D26
	v_mfma_i32_16x16x32_i8 v[80:83], a[40:41], a[8:9], v[80:83]// 0000000037D8: D3D70050 1D421128
	v_mfma_i32_16x16x32_i8 v[80:83], a[42:43], a[10:11], v[80:83]// 0000000037E0: D3D70050 1D42152A
	buffer_load_dwordx4 a[124:127], v38, s[84:87], 0 offen offset:1024// 0000000037E8: E05C1400 80957C26
	v_mfma_i32_16x16x32_i8 v[80:83], a[44:45], a[12:13], v[80:83]// 0000000037F0: D3D70050 1D42192C
	v_mfma_i32_16x16x32_i8 v[80:83], a[46:47], a[14:15], v[80:83]// 0000000037F8: D3D70050 1D421D2E
	v_mfma_i32_16x16x32_i8 v[84:87], a[48:49], a[8:9], v[84:87]// 000000003800: D3D70054 1D521130
	s_add_u32 s60, 0x180, s80                                  // 000000003808: 803C50FF 00000180
	s_cmp_lt_u32 s60, s81                                      // 000000003810: BF0A513C
	s_cselect_b32 s57, s57, 0                                  // 000000003814: 85398039
	v_mfma_i32_16x16x32_i8 v[84:87], a[50:51], a[10:11], v[84:87]// 000000003818: D3D70054 1D521532
	buffer_load_dwordx4 a[128:131], v39, s[84:87], 0 offen     // 000000003820: E05C1000 80958027
	s_add_u32 s60, 0x100, s80                                  // 000000003828: 803C50FF 00000100
	s_cmp_lt_u32 s60, s81                                      // 000000003830: BF0A513C
	s_cselect_b32 s58, s58, 0                                  // 000000003834: 853A803A
	v_mfma_i32_16x16x32_i8 v[84:87], a[52:53], a[12:13], v[84:87]// 000000003838: D3D70054 1D521934
	s_add_u32 s60, 0x100, s80                                  // 000000003840: 803C50FF 00000100
	s_cmp_lt_u32 s60, s81                                      // 000000003848: BF0A513C
	s_cselect_b32 s83, s83, 0                                  // 00000000384C: 85538053
	v_mfma_i32_16x16x32_i8 v[84:87], a[54:55], a[14:15], v[84:87]// 000000003850: D3D70054 1D521D36
	s_add_u32 s24, s58, s24                                    // 000000003858: 8018183A
	s_addc_u32 s25, 0, s25                                     // 00000000385C: 82191980
	v_mfma_i32_16x16x32_i8 v[88:91], a[56:57], a[8:9], v[88:91]// 000000003860: D3D70058 1D621138
	s_add_u32 s20, s57, s20                                    // 000000003868: 80141439
	s_addc_u32 s21, 0, s21                                     // 00000000386C: 82151580
	v_mfma_i32_16x16x32_i8 v[88:91], a[58:59], a[10:11], v[88:91]// 000000003870: D3D70058 1D62153A
	buffer_load_dwordx4 a[132:135], v39, s[84:87], 0 offen offset:1024// 000000003878: E05C1400 80958427
	v_mfma_i32_16x16x32_i8 v[88:91], a[60:61], a[12:13], v[88:91]// 000000003880: D3D70058 1D62193C
	v_mfma_i32_16x16x32_i8 v[88:91], a[62:63], a[14:15], v[88:91]// 000000003888: D3D70058 1D621D3E
	buffer_load_dwordx4 a[136:139], v40, s[84:87], 0 offen     // 000000003890: E05C1000 80958828
	buffer_load_dwordx4 a[140:143], v40, s[84:87], 0 offen offset:1024// 000000003898: E05C1400 80958C28
	buffer_load_dwordx4 a[144:147], v41, s[84:87], 0 offen     // 0000000038A0: E05C1000 80959029
	buffer_load_dwordx4 a[148:151], v41, s[84:87], 0 offen offset:1024// 0000000038A8: E05C1400 80959429
	buffer_load_dwordx4 a[152:155], v42, s[84:87], 0 offen     // 0000000038B0: E05C1000 8095982A
	buffer_load_dwordx4 a[156:159], v42, s[84:87], 0 offen offset:1024// 0000000038B8: E05C1400 80959C2A
	s_add_u32 s84, s83, s84                                    // 0000000038C0: 80545453
	s_addc_u32 s85, 0, s85                                     // 0000000038C4: 82555580
	s_addk_i32 s80, 0x80                                       // 0000000038C8: B7500080
	s_cmp_lt_i32 s80, s81                                      // 0000000038CC: BF045150
	s_cbranch_scc0 label_0602                                  // 0000000038D0: BF8402CD
	s_waitcnt vmcnt(14) lgkmcnt(0)                             // 0000000038D4: BF8C007E
	v_mfma_i32_16x16x32_i8 v[44:47], a[64:65], a[0:1], v[44:47]// 0000000038D8: D3D7002C 1CB20140
	v_mfma_i32_16x16x32_i8 v[44:47], a[66:67], a[2:3], v[44:47]// 0000000038E0: D3D7002C 1CB20542
	buffer_load_dwordx4 a[16:19], v37, s[24:27], 0 offen       // 0000000038E8: E05C1000 80861025
	v_mfma_i32_16x16x32_i8 v[44:47], a[68:69], a[4:5], v[44:47]// 0000000038F0: D3D7002C 1CB20944
	v_mfma_i32_16x16x32_i8 v[44:47], a[70:71], a[6:7], v[44:47]// 0000000038F8: D3D7002C 1CB20D46
	v_mfma_i32_16x16x32_i8 v[48:51], a[72:73], a[0:1], v[48:51]// 000000003900: D3D70030 1CC20148
	v_mfma_i32_16x16x32_i8 v[48:51], a[74:75], a[2:3], v[48:51]// 000000003908: D3D70030 1CC2054A
	buffer_load_dwordx4 a[20:23], v37, s[24:27], 0 offen offset:1024// 000000003910: E05C1400 80861425
	v_mfma_i32_16x16x32_i8 v[48:51], a[76:77], a[4:5], v[48:51]// 000000003918: D3D70030 1CC2094C
	v_mfma_i32_16x16x32_i8 v[48:51], a[78:79], a[6:7], v[48:51]// 000000003920: D3D70030 1CC20D4E
	v_mfma_i32_16x16x32_i8 v[52:55], a[80:81], a[0:1], v[52:55]// 000000003928: D3D70034 1CD20150
	v_mfma_i32_16x16x32_i8 v[52:55], a[82:83], a[2:3], v[52:55]// 000000003930: D3D70034 1CD20552
	buffer_load_dwordx4 a[24:27], v38, s[24:27], 0 offen       // 000000003938: E05C1000 80861826
	v_mfma_i32_16x16x32_i8 v[52:55], a[84:85], a[4:5], v[52:55]// 000000003940: D3D70034 1CD20954
	v_mfma_i32_16x16x32_i8 v[52:55], a[86:87], a[6:7], v[52:55]// 000000003948: D3D70034 1CD20D56
	v_mfma_i32_16x16x32_i8 v[56:59], a[88:89], a[0:1], v[56:59]// 000000003950: D3D70038 1CE20158
	v_mfma_i32_16x16x32_i8 v[56:59], a[90:91], a[2:3], v[56:59]// 000000003958: D3D70038 1CE2055A
	buffer_load_dwordx4 a[28:31], v38, s[24:27], 0 offen offset:1024// 000000003960: E05C1400 80861C26
	v_mfma_i32_16x16x32_i8 v[56:59], a[92:93], a[4:5], v[56:59]// 000000003968: D3D70038 1CE2095C
	v_mfma_i32_16x16x32_i8 v[56:59], a[94:95], a[6:7], v[56:59]// 000000003970: D3D70038 1CE20D5E
	v_mfma_i32_16x16x32_i8 v[60:63], a[96:97], a[0:1], v[60:63]// 000000003978: D3D7003C 1CF20160
	v_mfma_i32_16x16x32_i8 v[60:63], a[98:99], a[2:3], v[60:63]// 000000003980: D3D7003C 1CF20562
	buffer_load_dwordx4 a[32:35], v39, s[24:27], 0 offen       // 000000003988: E05C1000 80862027
	v_mfma_i32_16x16x32_i8 v[60:63], a[100:101], a[4:5], v[60:63]// 000000003990: D3D7003C 1CF20964
	v_mfma_i32_16x16x32_i8 v[60:63], a[102:103], a[6:7], v[60:63]// 000000003998: D3D7003C 1CF20D66
	v_mfma_i32_16x16x32_i8 v[64:67], a[104:105], a[0:1], v[64:67]// 0000000039A0: D3D70040 1D020168
	v_mfma_i32_16x16x32_i8 v[64:67], a[106:107], a[2:3], v[64:67]// 0000000039A8: D3D70040 1D02056A
	buffer_load_dwordx4 a[36:39], v39, s[24:27], 0 offen offset:1024// 0000000039B0: E05C1400 80862427
	v_mfma_i32_16x16x32_i8 v[64:67], a[108:109], a[4:5], v[64:67]// 0000000039B8: D3D70040 1D02096C
	v_mfma_i32_16x16x32_i8 v[64:67], a[110:111], a[6:7], v[64:67]// 0000000039C0: D3D70040 1D020D6E
	buffer_load_dwordx4 a[40:43], v40, s[24:27], 0 offen       // 0000000039C8: E05C1000 80862828
	buffer_load_dwordx4 a[44:47], v40, s[24:27], 0 offen offset:1024// 0000000039D0: E05C1400 80862C28
	buffer_load_dwordx4 a[48:51], v41, s[24:27], 0 offen       // 0000000039D8: E05C1000 80863029
	buffer_load_dwordx4 a[52:55], v41, s[24:27], 0 offen offset:1024// 0000000039E0: E05C1400 80863429
	buffer_load_dwordx4 a[56:59], v42, s[24:27], 0 offen       // 0000000039E8: E05C1000 8086382A
	buffer_load_dwordx4 a[60:63], v42, s[24:27], 0 offen offset:1024// 0000000039F0: E05C1400 80863C2A
	buffer_load_dword v35, s[20:23], 0 offen lds               // 0000000039F8: E0511000 80050023
	s_add_u32 m0, 0x100, s49                                   // 000000003A00: 807C31FF 00000100
	buffer_load_dword v36, s[20:23], 0 offen lds               // 000000003A08: E0511000 80050024
	s_add_u32 m0, 0, s50                                       // 000000003A10: 807C3280
	s_waitcnt vmcnt(14)                                        // 000000003A14: BF8C0F7E
	s_barrier                                                  // 000000003A18: BF8A0000
	v_mfma_i32_16x16x32_i8 v[68:71], a[112:113], a[0:1], v[68:71]// 000000003A1C: D3D70044 1D120170
	v_mfma_i32_16x16x32_i8 v[68:71], a[114:115], a[2:3], v[68:71]// 000000003A24: D3D70044 1D120572
	buffer_load_dwordx4 a[64:67], v37, s[84:87], 0 offen       // 000000003A2C: E05C1000 80954025
	v_mfma_i32_16x16x32_i8 v[68:71], a[116:117], a[4:5], v[68:71]// 000000003A34: D3D70044 1D120974
	v_mfma_i32_16x16x32_i8 v[68:71], a[118:119], a[6:7], v[68:71]// 000000003A3C: D3D70044 1D120D76
	ds_read_b128 a[8:11], v2                                   // 000000003A44: DBFE0000 08000002
	ds_read_b128 a[12:15], v2 offset:64                        // 000000003A4C: DBFE0040 0C000002
	v_mfma_i32_16x16x32_i8 v[72:75], a[120:121], a[0:1], v[72:75]// 000000003A54: D3D70048 1D220178
	v_mfma_i32_16x16x32_i8 v[72:75], a[122:123], a[2:3], v[72:75]// 000000003A5C: D3D70048 1D22057A
	buffer_load_dwordx4 a[68:71], v37, s[84:87], 0 offen offset:1024// 000000003A64: E05C1400 80954425
	v_mfma_i32_16x16x32_i8 v[72:75], a[124:125], a[4:5], v[72:75]// 000000003A6C: D3D70048 1D22097C
	v_mfma_i32_16x16x32_i8 v[72:75], a[126:127], a[6:7], v[72:75]// 000000003A74: D3D70048 1D220D7E
	v_mfma_i32_16x16x32_i8 v[76:79], a[128:129], a[0:1], v[76:79]// 000000003A7C: D3D7004C 1D320180
	v_mfma_i32_16x16x32_i8 v[76:79], a[130:131], a[2:3], v[76:79]// 000000003A84: D3D7004C 1D320582
	buffer_load_dwordx4 a[72:75], v38, s[84:87], 0 offen       // 000000003A8C: E05C1000 80954826
	v_mfma_i32_16x16x32_i8 v[76:79], a[132:133], a[4:5], v[76:79]// 000000003A94: D3D7004C 1D320984
	v_mfma_i32_16x16x32_i8 v[76:79], a[134:135], a[6:7], v[76:79]// 000000003A9C: D3D7004C 1D320D86
	v_mfma_i32_16x16x32_i8 v[80:83], a[136:137], a[0:1], v[80:83]// 000000003AA4: D3D70050 1D420188
	v_mfma_i32_16x16x32_i8 v[80:83], a[138:139], a[2:3], v[80:83]// 000000003AAC: D3D70050 1D42058A
	buffer_load_dwordx4 a[76:79], v38, s[84:87], 0 offen offset:1024// 000000003AB4: E05C1400 80954C26
	v_mfma_i32_16x16x32_i8 v[80:83], a[140:141], a[4:5], v[80:83]// 000000003ABC: D3D70050 1D42098C
	v_mfma_i32_16x16x32_i8 v[80:83], a[142:143], a[6:7], v[80:83]// 000000003AC4: D3D70050 1D420D8E
	v_mfma_i32_16x16x32_i8 v[84:87], a[144:145], a[0:1], v[84:87]// 000000003ACC: D3D70054 1D520190
	s_add_u32 s60, 0x180, s80                                  // 000000003AD4: 803C50FF 00000180
	s_cmp_lt_u32 s60, s81                                      // 000000003ADC: BF0A513C
	s_cselect_b32 s57, s57, 0                                  // 000000003AE0: 85398039
	v_mfma_i32_16x16x32_i8 v[84:87], a[146:147], a[2:3], v[84:87]// 000000003AE4: D3D70054 1D520592
	buffer_load_dwordx4 a[80:83], v39, s[84:87], 0 offen       // 000000003AEC: E05C1000 80955027
	s_add_u32 s60, 0x100, s80                                  // 000000003AF4: 803C50FF 00000100
	s_cmp_lt_u32 s60, s81                                      // 000000003AFC: BF0A513C
	s_cselect_b32 s58, s58, 0                                  // 000000003B00: 853A803A
	v_mfma_i32_16x16x32_i8 v[84:87], a[148:149], a[4:5], v[84:87]// 000000003B04: D3D70054 1D520994
	s_add_u32 s60, 0x100, s80                                  // 000000003B0C: 803C50FF 00000100
	s_cmp_lt_u32 s60, s81                                      // 000000003B14: BF0A513C
	s_cselect_b32 s83, s83, 0                                  // 000000003B18: 85538053
	v_mfma_i32_16x16x32_i8 v[84:87], a[150:151], a[6:7], v[84:87]// 000000003B1C: D3D70054 1D520D96
	s_add_u32 s24, s58, s24                                    // 000000003B24: 8018183A
	s_addc_u32 s25, 0, s25                                     // 000000003B28: 82191980
	v_mfma_i32_16x16x32_i8 v[88:91], a[152:153], a[0:1], v[88:91]// 000000003B2C: D3D70058 1D620198
	s_add_u32 s20, s57, s20                                    // 000000003B34: 80141439
	s_addc_u32 s21, 0, s21                                     // 000000003B38: 82151580
	v_mfma_i32_16x16x32_i8 v[88:91], a[154:155], a[2:3], v[88:91]// 000000003B3C: D3D70058 1D62059A
	buffer_load_dwordx4 a[84:87], v39, s[84:87], 0 offen offset:1024// 000000003B44: E05C1400 80955427
	v_mfma_i32_16x16x32_i8 v[88:91], a[156:157], a[4:5], v[88:91]// 000000003B4C: D3D70058 1D62099C
	v_mfma_i32_16x16x32_i8 v[88:91], a[158:159], a[6:7], v[88:91]// 000000003B54: D3D70058 1D620D9E
	buffer_load_dwordx4 a[88:91], v40, s[84:87], 0 offen       // 000000003B5C: E05C1000 80955828
	buffer_load_dwordx4 a[92:95], v40, s[84:87], 0 offen offset:1024// 000000003B64: E05C1400 80955C28
	buffer_load_dwordx4 a[96:99], v41, s[84:87], 0 offen       // 000000003B6C: E05C1000 80956029
	buffer_load_dwordx4 a[100:103], v41, s[84:87], 0 offen offset:1024// 000000003B74: E05C1400 80956429
	buffer_load_dwordx4 a[104:107], v42, s[84:87], 0 offen     // 000000003B7C: E05C1000 8095682A
	buffer_load_dwordx4 a[108:111], v42, s[84:87], 0 offen offset:1024// 000000003B84: E05C1400 80956C2A
	s_add_u32 s84, s83, s84                                    // 000000003B8C: 80545453
	s_addc_u32 s85, 0, s85                                     // 000000003B90: 82555580
	s_addk_i32 s80, 0x80                                       // 000000003B94: B7500080
	s_cmp_lt_i32 s80, s81                                      // 000000003B98: BF045150
	s_cbranch_scc0 label_0602                                  // 000000003B9C: BF84021A
	s_waitcnt vmcnt(14) lgkmcnt(0)                             // 000000003BA0: BF8C007E
	v_mfma_i32_16x16x32_i8 v[44:47], a[16:17], a[8:9], v[44:47]// 000000003BA4: D3D7002C 1CB21110
	v_mfma_i32_16x16x32_i8 v[44:47], a[18:19], a[10:11], v[44:47]// 000000003BAC: D3D7002C 1CB21512
	buffer_load_dwordx4 a[112:115], v37, s[24:27], 0 offen     // 000000003BB4: E05C1000 80867025
	v_mfma_i32_16x16x32_i8 v[44:47], a[20:21], a[12:13], v[44:47]// 000000003BBC: D3D7002C 1CB21914
	v_mfma_i32_16x16x32_i8 v[44:47], a[22:23], a[14:15], v[44:47]// 000000003BC4: D3D7002C 1CB21D16
	v_mfma_i32_16x16x32_i8 v[48:51], a[24:25], a[8:9], v[48:51]// 000000003BCC: D3D70030 1CC21118
	v_mfma_i32_16x16x32_i8 v[48:51], a[26:27], a[10:11], v[48:51]// 000000003BD4: D3D70030 1CC2151A
	buffer_load_dwordx4 a[116:119], v37, s[24:27], 0 offen offset:1024// 000000003BDC: E05C1400 80867425
	v_mfma_i32_16x16x32_i8 v[48:51], a[28:29], a[12:13], v[48:51]// 000000003BE4: D3D70030 1CC2191C
	v_mfma_i32_16x16x32_i8 v[48:51], a[30:31], a[14:15], v[48:51]// 000000003BEC: D3D70030 1CC21D1E
	v_mfma_i32_16x16x32_i8 v[52:55], a[32:33], a[8:9], v[52:55]// 000000003BF4: D3D70034 1CD21120
	v_mfma_i32_16x16x32_i8 v[52:55], a[34:35], a[10:11], v[52:55]// 000000003BFC: D3D70034 1CD21522
	buffer_load_dwordx4 a[120:123], v38, s[24:27], 0 offen     // 000000003C04: E05C1000 80867826
	v_mfma_i32_16x16x32_i8 v[52:55], a[36:37], a[12:13], v[52:55]// 000000003C0C: D3D70034 1CD21924
	v_mfma_i32_16x16x32_i8 v[52:55], a[38:39], a[14:15], v[52:55]// 000000003C14: D3D70034 1CD21D26
	v_mfma_i32_16x16x32_i8 v[56:59], a[40:41], a[8:9], v[56:59]// 000000003C1C: D3D70038 1CE21128
	v_mfma_i32_16x16x32_i8 v[56:59], a[42:43], a[10:11], v[56:59]// 000000003C24: D3D70038 1CE2152A
	buffer_load_dwordx4 a[124:127], v38, s[24:27], 0 offen offset:1024// 000000003C2C: E05C1400 80867C26
	v_mfma_i32_16x16x32_i8 v[56:59], a[44:45], a[12:13], v[56:59]// 000000003C34: D3D70038 1CE2192C
	v_mfma_i32_16x16x32_i8 v[56:59], a[46:47], a[14:15], v[56:59]// 000000003C3C: D3D70038 1CE21D2E
	v_mfma_i32_16x16x32_i8 v[60:63], a[48:49], a[8:9], v[60:63]// 000000003C44: D3D7003C 1CF21130
	v_mfma_i32_16x16x32_i8 v[60:63], a[50:51], a[10:11], v[60:63]// 000000003C4C: D3D7003C 1CF21532
	buffer_load_dwordx4 a[128:131], v39, s[24:27], 0 offen     // 000000003C54: E05C1000 80868027
	v_mfma_i32_16x16x32_i8 v[60:63], a[52:53], a[12:13], v[60:63]// 000000003C5C: D3D7003C 1CF21934
	v_mfma_i32_16x16x32_i8 v[60:63], a[54:55], a[14:15], v[60:63]// 000000003C64: D3D7003C 1CF21D36
	v_mfma_i32_16x16x32_i8 v[64:67], a[56:57], a[8:9], v[64:67]// 000000003C6C: D3D70040 1D021138
	v_mfma_i32_16x16x32_i8 v[64:67], a[58:59], a[10:11], v[64:67]// 000000003C74: D3D70040 1D02153A
	buffer_load_dwordx4 a[132:135], v39, s[24:27], 0 offen offset:1024// 000000003C7C: E05C1400 80868427
	v_mfma_i32_16x16x32_i8 v[64:67], a[60:61], a[12:13], v[64:67]// 000000003C84: D3D70040 1D02193C
	v_mfma_i32_16x16x32_i8 v[64:67], a[62:63], a[14:15], v[64:67]// 000000003C8C: D3D70040 1D021D3E
	buffer_load_dwordx4 a[136:139], v40, s[24:27], 0 offen     // 000000003C94: E05C1000 80868828
	buffer_load_dwordx4 a[140:143], v40, s[24:27], 0 offen offset:1024// 000000003C9C: E05C1400 80868C28
	buffer_load_dwordx4 a[144:147], v41, s[24:27], 0 offen     // 000000003CA4: E05C1000 80869029
	buffer_load_dwordx4 a[148:151], v41, s[24:27], 0 offen offset:1024// 000000003CAC: E05C1400 80869429
	buffer_load_dwordx4 a[152:155], v42, s[24:27], 0 offen     // 000000003CB4: E05C1000 8086982A
	buffer_load_dwordx4 a[156:159], v42, s[24:27], 0 offen offset:1024// 000000003CBC: E05C1400 80869C2A
	buffer_load_dword v35, s[20:23], 0 offen lds               // 000000003CC4: E0511000 80050023
	s_add_u32 m0, 0x100, s50                                   // 000000003CCC: 807C32FF 00000100
	buffer_load_dword v36, s[20:23], 0 offen lds               // 000000003CD4: E0511000 80050024
	s_add_u32 m0, 0, s48                                       // 000000003CDC: 807C3080
	s_waitcnt vmcnt(14)                                        // 000000003CE0: BF8C0F7E
	s_barrier                                                  // 000000003CE4: BF8A0000
	v_mfma_i32_16x16x32_i8 v[68:71], a[64:65], a[8:9], v[68:71]// 000000003CE8: D3D70044 1D121140
	v_mfma_i32_16x16x32_i8 v[68:71], a[66:67], a[10:11], v[68:71]// 000000003CF0: D3D70044 1D121542
	buffer_load_dwordx4 a[16:19], v37, s[84:87], 0 offen       // 000000003CF8: E05C1000 80951025
	v_mfma_i32_16x16x32_i8 v[68:71], a[68:69], a[12:13], v[68:71]// 000000003D00: D3D70044 1D121944
	v_mfma_i32_16x16x32_i8 v[68:71], a[70:71], a[14:15], v[68:71]// 000000003D08: D3D70044 1D121D46
	ds_read_b128 a[0:3], v2 offset:2176                        // 000000003D10: DBFE0880 00000002
	ds_read_b128 a[4:7], v2 offset:2240                        // 000000003D18: DBFE08C0 04000002
	v_mfma_i32_16x16x32_i8 v[72:75], a[72:73], a[8:9], v[72:75]// 000000003D20: D3D70048 1D221148
	v_mfma_i32_16x16x32_i8 v[72:75], a[74:75], a[10:11], v[72:75]// 000000003D28: D3D70048 1D22154A
	buffer_load_dwordx4 a[20:23], v37, s[84:87], 0 offen offset:1024// 000000003D30: E05C1400 80951425
	v_mfma_i32_16x16x32_i8 v[72:75], a[76:77], a[12:13], v[72:75]// 000000003D38: D3D70048 1D22194C
	v_mfma_i32_16x16x32_i8 v[72:75], a[78:79], a[14:15], v[72:75]// 000000003D40: D3D70048 1D221D4E
	v_mfma_i32_16x16x32_i8 v[76:79], a[80:81], a[8:9], v[76:79]// 000000003D48: D3D7004C 1D321150
	v_mfma_i32_16x16x32_i8 v[76:79], a[82:83], a[10:11], v[76:79]// 000000003D50: D3D7004C 1D321552
	buffer_load_dwordx4 a[24:27], v38, s[84:87], 0 offen       // 000000003D58: E05C1000 80951826
	v_mfma_i32_16x16x32_i8 v[76:79], a[84:85], a[12:13], v[76:79]// 000000003D60: D3D7004C 1D321954
	v_mfma_i32_16x16x32_i8 v[76:79], a[86:87], a[14:15], v[76:79]// 000000003D68: D3D7004C 1D321D56
	v_mfma_i32_16x16x32_i8 v[80:83], a[88:89], a[8:9], v[80:83]// 000000003D70: D3D70050 1D421158
	v_mfma_i32_16x16x32_i8 v[80:83], a[90:91], a[10:11], v[80:83]// 000000003D78: D3D70050 1D42155A
	buffer_load_dwordx4 a[28:31], v38, s[84:87], 0 offen offset:1024// 000000003D80: E05C1400 80951C26
	v_mfma_i32_16x16x32_i8 v[80:83], a[92:93], a[12:13], v[80:83]// 000000003D88: D3D70050 1D42195C
	v_mfma_i32_16x16x32_i8 v[80:83], a[94:95], a[14:15], v[80:83]// 000000003D90: D3D70050 1D421D5E
	v_mfma_i32_16x16x32_i8 v[84:87], a[96:97], a[8:9], v[84:87]// 000000003D98: D3D70054 1D521160
	s_add_u32 s60, 0x180, s80                                  // 000000003DA0: 803C50FF 00000180
	s_cmp_lt_u32 s60, s81                                      // 000000003DA8: BF0A513C
	s_cselect_b32 s57, s57, 0                                  // 000000003DAC: 85398039
	v_mfma_i32_16x16x32_i8 v[84:87], a[98:99], a[10:11], v[84:87]// 000000003DB0: D3D70054 1D521562
	buffer_load_dwordx4 a[32:35], v39, s[84:87], 0 offen       // 000000003DB8: E05C1000 80952027
	s_add_u32 s60, 0x100, s80                                  // 000000003DC0: 803C50FF 00000100
	s_cmp_lt_u32 s60, s81                                      // 000000003DC8: BF0A513C
	s_cselect_b32 s58, s58, 0                                  // 000000003DCC: 853A803A
	v_mfma_i32_16x16x32_i8 v[84:87], a[100:101], a[12:13], v[84:87]// 000000003DD0: D3D70054 1D521964
	s_add_u32 s60, 0x100, s80                                  // 000000003DD8: 803C50FF 00000100
	s_cmp_lt_u32 s60, s81                                      // 000000003DE0: BF0A513C
	s_cselect_b32 s83, s83, 0                                  // 000000003DE4: 85538053
	v_mfma_i32_16x16x32_i8 v[84:87], a[102:103], a[14:15], v[84:87]// 000000003DE8: D3D70054 1D521D66
	s_add_u32 s24, s58, s24                                    // 000000003DF0: 8018183A
	s_addc_u32 s25, 0, s25                                     // 000000003DF4: 82191980
	v_mfma_i32_16x16x32_i8 v[88:91], a[104:105], a[8:9], v[88:91]// 000000003DF8: D3D70058 1D621168
	s_add_u32 s20, s57, s20                                    // 000000003E00: 80141439
	s_addc_u32 s21, 0, s21                                     // 000000003E04: 82151580
	v_mfma_i32_16x16x32_i8 v[88:91], a[106:107], a[10:11], v[88:91]// 000000003E08: D3D70058 1D62156A
	buffer_load_dwordx4 a[36:39], v39, s[84:87], 0 offen offset:1024// 000000003E10: E05C1400 80952427
	v_mfma_i32_16x16x32_i8 v[88:91], a[108:109], a[12:13], v[88:91]// 000000003E18: D3D70058 1D62196C
	v_mfma_i32_16x16x32_i8 v[88:91], a[110:111], a[14:15], v[88:91]// 000000003E20: D3D70058 1D621D6E
	buffer_load_dwordx4 a[40:43], v40, s[84:87], 0 offen       // 000000003E28: E05C1000 80952828
	buffer_load_dwordx4 a[44:47], v40, s[84:87], 0 offen offset:1024// 000000003E30: E05C1400 80952C28
	buffer_load_dwordx4 a[48:51], v41, s[84:87], 0 offen       // 000000003E38: E05C1000 80953029
	buffer_load_dwordx4 a[52:55], v41, s[84:87], 0 offen offset:1024// 000000003E40: E05C1400 80953429
	buffer_load_dwordx4 a[56:59], v42, s[84:87], 0 offen       // 000000003E48: E05C1000 8095382A
	buffer_load_dwordx4 a[60:63], v42, s[84:87], 0 offen offset:1024// 000000003E50: E05C1400 80953C2A
	s_add_u32 s84, s83, s84                                    // 000000003E58: 80545453
	s_addc_u32 s85, 0, s85                                     // 000000003E5C: 82555580
	s_addk_i32 s80, 0x80                                       // 000000003E60: B7500080
	s_cmp_lt_i32 s80, s81                                      // 000000003E64: BF045150
	s_cbranch_scc0 label_0602                                  // 000000003E68: BF840167
	s_waitcnt vmcnt(14) lgkmcnt(0)                             // 000000003E6C: BF8C007E
	v_mfma_i32_16x16x32_i8 v[44:47], a[112:113], a[0:1], v[44:47]// 000000003E70: D3D7002C 1CB20170
	v_mfma_i32_16x16x32_i8 v[44:47], a[114:115], a[2:3], v[44:47]// 000000003E78: D3D7002C 1CB20572
	buffer_load_dwordx4 a[64:67], v37, s[24:27], 0 offen       // 000000003E80: E05C1000 80864025
	v_mfma_i32_16x16x32_i8 v[44:47], a[116:117], a[4:5], v[44:47]// 000000003E88: D3D7002C 1CB20974
	v_mfma_i32_16x16x32_i8 v[44:47], a[118:119], a[6:7], v[44:47]// 000000003E90: D3D7002C 1CB20D76
	v_mfma_i32_16x16x32_i8 v[48:51], a[120:121], a[0:1], v[48:51]// 000000003E98: D3D70030 1CC20178
	v_mfma_i32_16x16x32_i8 v[48:51], a[122:123], a[2:3], v[48:51]// 000000003EA0: D3D70030 1CC2057A
	buffer_load_dwordx4 a[68:71], v37, s[24:27], 0 offen offset:1024// 000000003EA8: E05C1400 80864425
	v_mfma_i32_16x16x32_i8 v[48:51], a[124:125], a[4:5], v[48:51]// 000000003EB0: D3D70030 1CC2097C
	v_mfma_i32_16x16x32_i8 v[48:51], a[126:127], a[6:7], v[48:51]// 000000003EB8: D3D70030 1CC20D7E
	v_mfma_i32_16x16x32_i8 v[52:55], a[128:129], a[0:1], v[52:55]// 000000003EC0: D3D70034 1CD20180
	v_mfma_i32_16x16x32_i8 v[52:55], a[130:131], a[2:3], v[52:55]// 000000003EC8: D3D70034 1CD20582
	buffer_load_dwordx4 a[72:75], v38, s[24:27], 0 offen       // 000000003ED0: E05C1000 80864826
	v_mfma_i32_16x16x32_i8 v[52:55], a[132:133], a[4:5], v[52:55]// 000000003ED8: D3D70034 1CD20984
	v_mfma_i32_16x16x32_i8 v[52:55], a[134:135], a[6:7], v[52:55]// 000000003EE0: D3D70034 1CD20D86
	v_mfma_i32_16x16x32_i8 v[56:59], a[136:137], a[0:1], v[56:59]// 000000003EE8: D3D70038 1CE20188
	v_mfma_i32_16x16x32_i8 v[56:59], a[138:139], a[2:3], v[56:59]// 000000003EF0: D3D70038 1CE2058A
	buffer_load_dwordx4 a[76:79], v38, s[24:27], 0 offen offset:1024// 000000003EF8: E05C1400 80864C26
	v_mfma_i32_16x16x32_i8 v[56:59], a[140:141], a[4:5], v[56:59]// 000000003F00: D3D70038 1CE2098C
	v_mfma_i32_16x16x32_i8 v[56:59], a[142:143], a[6:7], v[56:59]// 000000003F08: D3D70038 1CE20D8E
	v_mfma_i32_16x16x32_i8 v[60:63], a[144:145], a[0:1], v[60:63]// 000000003F10: D3D7003C 1CF20190
	v_mfma_i32_16x16x32_i8 v[60:63], a[146:147], a[2:3], v[60:63]// 000000003F18: D3D7003C 1CF20592
	buffer_load_dwordx4 a[80:83], v39, s[24:27], 0 offen       // 000000003F20: E05C1000 80865027
	v_mfma_i32_16x16x32_i8 v[60:63], a[148:149], a[4:5], v[60:63]// 000000003F28: D3D7003C 1CF20994
	v_mfma_i32_16x16x32_i8 v[60:63], a[150:151], a[6:7], v[60:63]// 000000003F30: D3D7003C 1CF20D96
	v_mfma_i32_16x16x32_i8 v[64:67], a[152:153], a[0:1], v[64:67]// 000000003F38: D3D70040 1D020198
	v_mfma_i32_16x16x32_i8 v[64:67], a[154:155], a[2:3], v[64:67]// 000000003F40: D3D70040 1D02059A
	buffer_load_dwordx4 a[84:87], v39, s[24:27], 0 offen offset:1024// 000000003F48: E05C1400 80865427
	v_mfma_i32_16x16x32_i8 v[64:67], a[156:157], a[4:5], v[64:67]// 000000003F50: D3D70040 1D02099C
	v_mfma_i32_16x16x32_i8 v[64:67], a[158:159], a[6:7], v[64:67]// 000000003F58: D3D70040 1D020D9E
	buffer_load_dwordx4 a[88:91], v40, s[24:27], 0 offen       // 000000003F60: E05C1000 80865828
	buffer_load_dwordx4 a[92:95], v40, s[24:27], 0 offen offset:1024// 000000003F68: E05C1400 80865C28
	buffer_load_dwordx4 a[96:99], v41, s[24:27], 0 offen       // 000000003F70: E05C1000 80866029
	buffer_load_dwordx4 a[100:103], v41, s[24:27], 0 offen offset:1024// 000000003F78: E05C1400 80866429
	buffer_load_dwordx4 a[104:107], v42, s[24:27], 0 offen     // 000000003F80: E05C1000 8086682A
	buffer_load_dwordx4 a[108:111], v42, s[24:27], 0 offen offset:1024// 000000003F88: E05C1400 80866C2A
	buffer_load_dword v35, s[20:23], 0 offen lds               // 000000003F90: E0511000 80050023
	s_add_u32 m0, 0x100, s48                                   // 000000003F98: 807C30FF 00000100
	buffer_load_dword v36, s[20:23], 0 offen lds               // 000000003FA0: E0511000 80050024
	s_add_u32 m0, 0, s49                                       // 000000003FA8: 807C3180
	s_waitcnt vmcnt(14)                                        // 000000003FAC: BF8C0F7E
	s_barrier                                                  // 000000003FB0: BF8A0000
	v_mfma_i32_16x16x32_i8 v[68:71], a[16:17], a[0:1], v[68:71]// 000000003FB4: D3D70044 1D120110
	v_mfma_i32_16x16x32_i8 v[68:71], a[18:19], a[2:3], v[68:71]// 000000003FBC: D3D70044 1D120512
	buffer_load_dwordx4 a[112:115], v37, s[84:87], 0 offen     // 000000003FC4: E05C1000 80957025
	v_mfma_i32_16x16x32_i8 v[68:71], a[20:21], a[4:5], v[68:71]// 000000003FCC: D3D70044 1D120914
	v_mfma_i32_16x16x32_i8 v[68:71], a[22:23], a[6:7], v[68:71]// 000000003FD4: D3D70044 1D120D16
	ds_read_b128 a[8:11], v2 offset:4352                       // 000000003FDC: DBFE1100 08000002
	ds_read_b128 a[12:15], v2 offset:4416                      // 000000003FE4: DBFE1140 0C000002
	v_mfma_i32_16x16x32_i8 v[72:75], a[24:25], a[0:1], v[72:75]// 000000003FEC: D3D70048 1D220118
	v_mfma_i32_16x16x32_i8 v[72:75], a[26:27], a[2:3], v[72:75]// 000000003FF4: D3D70048 1D22051A
	buffer_load_dwordx4 a[116:119], v37, s[84:87], 0 offen offset:1024// 000000003FFC: E05C1400 80957425
	v_mfma_i32_16x16x32_i8 v[72:75], a[28:29], a[4:5], v[72:75]// 000000004004: D3D70048 1D22091C
	v_mfma_i32_16x16x32_i8 v[72:75], a[30:31], a[6:7], v[72:75]// 00000000400C: D3D70048 1D220D1E
	v_mfma_i32_16x16x32_i8 v[76:79], a[32:33], a[0:1], v[76:79]// 000000004014: D3D7004C 1D320120
	v_mfma_i32_16x16x32_i8 v[76:79], a[34:35], a[2:3], v[76:79]// 00000000401C: D3D7004C 1D320522
	buffer_load_dwordx4 a[120:123], v38, s[84:87], 0 offen     // 000000004024: E05C1000 80957826
	v_mfma_i32_16x16x32_i8 v[76:79], a[36:37], a[4:5], v[76:79]// 00000000402C: D3D7004C 1D320924
	v_mfma_i32_16x16x32_i8 v[76:79], a[38:39], a[6:7], v[76:79]// 000000004034: D3D7004C 1D320D26
	v_mfma_i32_16x16x32_i8 v[80:83], a[40:41], a[0:1], v[80:83]// 00000000403C: D3D70050 1D420128
	v_mfma_i32_16x16x32_i8 v[80:83], a[42:43], a[2:3], v[80:83]// 000000004044: D3D70050 1D42052A
	buffer_load_dwordx4 a[124:127], v38, s[84:87], 0 offen offset:1024// 00000000404C: E05C1400 80957C26
	v_mfma_i32_16x16x32_i8 v[80:83], a[44:45], a[4:5], v[80:83]// 000000004054: D3D70050 1D42092C
	v_mfma_i32_16x16x32_i8 v[80:83], a[46:47], a[6:7], v[80:83]// 00000000405C: D3D70050 1D420D2E
	v_mfma_i32_16x16x32_i8 v[84:87], a[48:49], a[0:1], v[84:87]// 000000004064: D3D70054 1D520130
	s_add_u32 s60, 0x180, s80                                  // 00000000406C: 803C50FF 00000180
	s_cmp_lt_u32 s60, s81                                      // 000000004074: BF0A513C
	s_cselect_b32 s57, s57, 0                                  // 000000004078: 85398039
	v_mfma_i32_16x16x32_i8 v[84:87], a[50:51], a[2:3], v[84:87]// 00000000407C: D3D70054 1D520532
	buffer_load_dwordx4 a[128:131], v39, s[84:87], 0 offen     // 000000004084: E05C1000 80958027
	s_add_u32 s60, 0x100, s80                                  // 00000000408C: 803C50FF 00000100
	s_cmp_lt_u32 s60, s81                                      // 000000004094: BF0A513C
	s_cselect_b32 s58, s58, 0                                  // 000000004098: 853A803A
	v_mfma_i32_16x16x32_i8 v[84:87], a[52:53], a[4:5], v[84:87]// 00000000409C: D3D70054 1D520934
	s_add_u32 s60, 0x100, s80                                  // 0000000040A4: 803C50FF 00000100
	s_cmp_lt_u32 s60, s81                                      // 0000000040AC: BF0A513C
	s_cselect_b32 s83, s83, 0                                  // 0000000040B0: 85538053
	v_mfma_i32_16x16x32_i8 v[84:87], a[54:55], a[6:7], v[84:87]// 0000000040B4: D3D70054 1D520D36
	s_add_u32 s24, s58, s24                                    // 0000000040BC: 8018183A
	s_addc_u32 s25, 0, s25                                     // 0000000040C0: 82191980
	v_mfma_i32_16x16x32_i8 v[88:91], a[56:57], a[0:1], v[88:91]// 0000000040C4: D3D70058 1D620138
	s_add_u32 s20, s57, s20                                    // 0000000040CC: 80141439
	s_addc_u32 s21, 0, s21                                     // 0000000040D0: 82151580
	v_mfma_i32_16x16x32_i8 v[88:91], a[58:59], a[2:3], v[88:91]// 0000000040D4: D3D70058 1D62053A
	buffer_load_dwordx4 a[132:135], v39, s[84:87], 0 offen offset:1024// 0000000040DC: E05C1400 80958427
	v_mfma_i32_16x16x32_i8 v[88:91], a[60:61], a[4:5], v[88:91]// 0000000040E4: D3D70058 1D62093C
	v_mfma_i32_16x16x32_i8 v[88:91], a[62:63], a[6:7], v[88:91]// 0000000040EC: D3D70058 1D620D3E
	buffer_load_dwordx4 a[136:139], v40, s[84:87], 0 offen     // 0000000040F4: E05C1000 80958828
	buffer_load_dwordx4 a[140:143], v40, s[84:87], 0 offen offset:1024// 0000000040FC: E05C1400 80958C28
	buffer_load_dwordx4 a[144:147], v41, s[84:87], 0 offen     // 000000004104: E05C1000 80959029
	buffer_load_dwordx4 a[148:151], v41, s[84:87], 0 offen offset:1024// 00000000410C: E05C1400 80959429
	buffer_load_dwordx4 a[152:155], v42, s[84:87], 0 offen     // 000000004114: E05C1000 8095982A
	buffer_load_dwordx4 a[156:159], v42, s[84:87], 0 offen offset:1024// 00000000411C: E05C1400 80959C2A
	s_add_u32 s84, s83, s84                                    // 000000004124: 80545453
	s_addc_u32 s85, 0, s85                                     // 000000004128: 82555580
	s_addk_i32 s80, 0x80                                       // 00000000412C: B7500080
	s_cmp_lt_i32 s80, s81                                      // 000000004130: BF045150
	s_cbranch_scc0 label_0602                                  // 000000004134: BF8400B4
	s_waitcnt vmcnt(14) lgkmcnt(0)                             // 000000004138: BF8C007E
	v_mfma_i32_16x16x32_i8 v[44:47], a[64:65], a[8:9], v[44:47]// 00000000413C: D3D7002C 1CB21140
	v_mfma_i32_16x16x32_i8 v[44:47], a[66:67], a[10:11], v[44:47]// 000000004144: D3D7002C 1CB21542
	buffer_load_dwordx4 a[16:19], v37, s[24:27], 0 offen       // 00000000414C: E05C1000 80861025
	v_mfma_i32_16x16x32_i8 v[44:47], a[68:69], a[12:13], v[44:47]// 000000004154: D3D7002C 1CB21944
	v_mfma_i32_16x16x32_i8 v[44:47], a[70:71], a[14:15], v[44:47]// 00000000415C: D3D7002C 1CB21D46
	v_mfma_i32_16x16x32_i8 v[48:51], a[72:73], a[8:9], v[48:51]// 000000004164: D3D70030 1CC21148
	v_mfma_i32_16x16x32_i8 v[48:51], a[74:75], a[10:11], v[48:51]// 00000000416C: D3D70030 1CC2154A
	buffer_load_dwordx4 a[20:23], v37, s[24:27], 0 offen offset:1024// 000000004174: E05C1400 80861425
	v_mfma_i32_16x16x32_i8 v[48:51], a[76:77], a[12:13], v[48:51]// 00000000417C: D3D70030 1CC2194C
	v_mfma_i32_16x16x32_i8 v[48:51], a[78:79], a[14:15], v[48:51]// 000000004184: D3D70030 1CC21D4E
	v_mfma_i32_16x16x32_i8 v[52:55], a[80:81], a[8:9], v[52:55]// 00000000418C: D3D70034 1CD21150
	v_mfma_i32_16x16x32_i8 v[52:55], a[82:83], a[10:11], v[52:55]// 000000004194: D3D70034 1CD21552
	buffer_load_dwordx4 a[24:27], v38, s[24:27], 0 offen       // 00000000419C: E05C1000 80861826
	v_mfma_i32_16x16x32_i8 v[52:55], a[84:85], a[12:13], v[52:55]// 0000000041A4: D3D70034 1CD21954
	v_mfma_i32_16x16x32_i8 v[52:55], a[86:87], a[14:15], v[52:55]// 0000000041AC: D3D70034 1CD21D56
	v_mfma_i32_16x16x32_i8 v[56:59], a[88:89], a[8:9], v[56:59]// 0000000041B4: D3D70038 1CE21158
	v_mfma_i32_16x16x32_i8 v[56:59], a[90:91], a[10:11], v[56:59]// 0000000041BC: D3D70038 1CE2155A
	buffer_load_dwordx4 a[28:31], v38, s[24:27], 0 offen offset:1024// 0000000041C4: E05C1400 80861C26
	v_mfma_i32_16x16x32_i8 v[56:59], a[92:93], a[12:13], v[56:59]// 0000000041CC: D3D70038 1CE2195C
	v_mfma_i32_16x16x32_i8 v[56:59], a[94:95], a[14:15], v[56:59]// 0000000041D4: D3D70038 1CE21D5E
	v_mfma_i32_16x16x32_i8 v[60:63], a[96:97], a[8:9], v[60:63]// 0000000041DC: D3D7003C 1CF21160
	v_mfma_i32_16x16x32_i8 v[60:63], a[98:99], a[10:11], v[60:63]// 0000000041E4: D3D7003C 1CF21562
	buffer_load_dwordx4 a[32:35], v39, s[24:27], 0 offen       // 0000000041EC: E05C1000 80862027
	v_mfma_i32_16x16x32_i8 v[60:63], a[100:101], a[12:13], v[60:63]// 0000000041F4: D3D7003C 1CF21964
	v_mfma_i32_16x16x32_i8 v[60:63], a[102:103], a[14:15], v[60:63]// 0000000041FC: D3D7003C 1CF21D66
	v_mfma_i32_16x16x32_i8 v[64:67], a[104:105], a[8:9], v[64:67]// 000000004204: D3D70040 1D021168
	v_mfma_i32_16x16x32_i8 v[64:67], a[106:107], a[10:11], v[64:67]// 00000000420C: D3D70040 1D02156A
	buffer_load_dwordx4 a[36:39], v39, s[24:27], 0 offen offset:1024// 000000004214: E05C1400 80862427
	v_mfma_i32_16x16x32_i8 v[64:67], a[108:109], a[12:13], v[64:67]// 00000000421C: D3D70040 1D02196C
	v_mfma_i32_16x16x32_i8 v[64:67], a[110:111], a[14:15], v[64:67]// 000000004224: D3D70040 1D021D6E
	buffer_load_dwordx4 a[40:43], v40, s[24:27], 0 offen       // 00000000422C: E05C1000 80862828
	buffer_load_dwordx4 a[44:47], v40, s[24:27], 0 offen offset:1024// 000000004234: E05C1400 80862C28
	buffer_load_dwordx4 a[48:51], v41, s[24:27], 0 offen       // 00000000423C: E05C1000 80863029
	buffer_load_dwordx4 a[52:55], v41, s[24:27], 0 offen offset:1024// 000000004244: E05C1400 80863429
	buffer_load_dwordx4 a[56:59], v42, s[24:27], 0 offen       // 00000000424C: E05C1000 8086382A
	buffer_load_dwordx4 a[60:63], v42, s[24:27], 0 offen offset:1024// 000000004254: E05C1400 80863C2A
	buffer_load_dword v35, s[20:23], 0 offen lds               // 00000000425C: E0511000 80050023
	s_add_u32 m0, 0x100, s49                                   // 000000004264: 807C31FF 00000100
	buffer_load_dword v36, s[20:23], 0 offen lds               // 00000000426C: E0511000 80050024
	s_add_u32 m0, 0, s50                                       // 000000004274: 807C3280
	s_waitcnt vmcnt(14)                                        // 000000004278: BF8C0F7E
	s_barrier                                                  // 00000000427C: BF8A0000
	v_mfma_i32_16x16x32_i8 v[68:71], a[112:113], a[8:9], v[68:71]// 000000004280: D3D70044 1D121170
	v_mfma_i32_16x16x32_i8 v[68:71], a[114:115], a[10:11], v[68:71]// 000000004288: D3D70044 1D121572
	buffer_load_dwordx4 a[64:67], v37, s[84:87], 0 offen       // 000000004290: E05C1000 80954025
	v_mfma_i32_16x16x32_i8 v[68:71], a[116:117], a[12:13], v[68:71]// 000000004298: D3D70044 1D121974
	v_mfma_i32_16x16x32_i8 v[68:71], a[118:119], a[14:15], v[68:71]// 0000000042A0: D3D70044 1D121D76
	ds_read_b128 a[0:3], v2                                    // 0000000042A8: DBFE0000 00000002
	ds_read_b128 a[4:7], v2 offset:64                          // 0000000042B0: DBFE0040 04000002
	v_mfma_i32_16x16x32_i8 v[72:75], a[120:121], a[8:9], v[72:75]// 0000000042B8: D3D70048 1D221178
	v_mfma_i32_16x16x32_i8 v[72:75], a[122:123], a[10:11], v[72:75]// 0000000042C0: D3D70048 1D22157A
	buffer_load_dwordx4 a[68:71], v37, s[84:87], 0 offen offset:1024// 0000000042C8: E05C1400 80954425
	v_mfma_i32_16x16x32_i8 v[72:75], a[124:125], a[12:13], v[72:75]// 0000000042D0: D3D70048 1D22197C
	v_mfma_i32_16x16x32_i8 v[72:75], a[126:127], a[14:15], v[72:75]// 0000000042D8: D3D70048 1D221D7E
	v_mfma_i32_16x16x32_i8 v[76:79], a[128:129], a[8:9], v[76:79]// 0000000042E0: D3D7004C 1D321180
	v_mfma_i32_16x16x32_i8 v[76:79], a[130:131], a[10:11], v[76:79]// 0000000042E8: D3D7004C 1D321582
	buffer_load_dwordx4 a[72:75], v38, s[84:87], 0 offen       // 0000000042F0: E05C1000 80954826
	v_mfma_i32_16x16x32_i8 v[76:79], a[132:133], a[12:13], v[76:79]// 0000000042F8: D3D7004C 1D321984
	v_mfma_i32_16x16x32_i8 v[76:79], a[134:135], a[14:15], v[76:79]// 000000004300: D3D7004C 1D321D86
	v_mfma_i32_16x16x32_i8 v[80:83], a[136:137], a[8:9], v[80:83]// 000000004308: D3D70050 1D421188
	v_mfma_i32_16x16x32_i8 v[80:83], a[138:139], a[10:11], v[80:83]// 000000004310: D3D70050 1D42158A
	buffer_load_dwordx4 a[76:79], v38, s[84:87], 0 offen offset:1024// 000000004318: E05C1400 80954C26
	v_mfma_i32_16x16x32_i8 v[80:83], a[140:141], a[12:13], v[80:83]// 000000004320: D3D70050 1D42198C
	v_mfma_i32_16x16x32_i8 v[80:83], a[142:143], a[14:15], v[80:83]// 000000004328: D3D70050 1D421D8E
	v_mfma_i32_16x16x32_i8 v[84:87], a[144:145], a[8:9], v[84:87]// 000000004330: D3D70054 1D521190
	s_add_u32 s60, 0x180, s80                                  // 000000004338: 803C50FF 00000180
	s_cmp_lt_u32 s60, s81                                      // 000000004340: BF0A513C
	s_cselect_b32 s57, s57, 0                                  // 000000004344: 85398039
	v_mfma_i32_16x16x32_i8 v[84:87], a[146:147], a[10:11], v[84:87]// 000000004348: D3D70054 1D521592
	buffer_load_dwordx4 a[80:83], v39, s[84:87], 0 offen       // 000000004350: E05C1000 80955027
	s_add_u32 s60, 0x100, s80                                  // 000000004358: 803C50FF 00000100
	s_cmp_lt_u32 s60, s81                                      // 000000004360: BF0A513C
	s_cselect_b32 s58, s58, 0                                  // 000000004364: 853A803A
	v_mfma_i32_16x16x32_i8 v[84:87], a[148:149], a[12:13], v[84:87]// 000000004368: D3D70054 1D521994
	s_add_u32 s60, 0x100, s80                                  // 000000004370: 803C50FF 00000100
	s_cmp_lt_u32 s60, s81                                      // 000000004378: BF0A513C
	s_cselect_b32 s83, s83, 0                                  // 00000000437C: 85538053
	v_mfma_i32_16x16x32_i8 v[84:87], a[150:151], a[14:15], v[84:87]// 000000004380: D3D70054 1D521D96
	s_add_u32 s24, s58, s24                                    // 000000004388: 8018183A
	s_addc_u32 s25, 0, s25                                     // 00000000438C: 82191980
	v_mfma_i32_16x16x32_i8 v[88:91], a[152:153], a[8:9], v[88:91]// 000000004390: D3D70058 1D621198
	s_add_u32 s20, s57, s20                                    // 000000004398: 80141439
	s_addc_u32 s21, 0, s21                                     // 00000000439C: 82151580
	v_mfma_i32_16x16x32_i8 v[88:91], a[154:155], a[10:11], v[88:91]// 0000000043A0: D3D70058 1D62159A
	buffer_load_dwordx4 a[84:87], v39, s[84:87], 0 offen offset:1024// 0000000043A8: E05C1400 80955427
	v_mfma_i32_16x16x32_i8 v[88:91], a[156:157], a[12:13], v[88:91]// 0000000043B0: D3D70058 1D62199C
	v_mfma_i32_16x16x32_i8 v[88:91], a[158:159], a[14:15], v[88:91]// 0000000043B8: D3D70058 1D621D9E
	buffer_load_dwordx4 a[88:91], v40, s[84:87], 0 offen       // 0000000043C0: E05C1000 80955828
	buffer_load_dwordx4 a[92:95], v40, s[84:87], 0 offen offset:1024// 0000000043C8: E05C1400 80955C28
	buffer_load_dwordx4 a[96:99], v41, s[84:87], 0 offen       // 0000000043D0: E05C1000 80956029
	buffer_load_dwordx4 a[100:103], v41, s[84:87], 0 offen offset:1024// 0000000043D8: E05C1400 80956429
	buffer_load_dwordx4 a[104:107], v42, s[84:87], 0 offen     // 0000000043E0: E05C1000 8095682A
	buffer_load_dwordx4 a[108:111], v42, s[84:87], 0 offen offset:1024// 0000000043E8: E05C1400 80956C2A
	s_add_u32 s84, s83, s84                                    // 0000000043F0: 80545453
	s_addc_u32 s85, 0, s85                                     // 0000000043F4: 82555580
	s_addk_i32 s80, 0x80                                       // 0000000043F8: B7500080
	s_cmp_lt_i32 s80, s81                                      // 0000000043FC: BF045150
	s_cbranch_scc0 label_0602                                  // 000000004400: BF840001
	s_branch label_01CF                                        // 000000004404: BF82FBCD

0000000000004408 <label_0602>:
	v_cvt_f32_i32_e32 v44, v44                                 // 000000004408: 7E580B2C
	v_cvt_f32_i32_e32 v45, v45                                 // 00000000440C: 7E5A0B2D
	v_cvt_f32_i32_e32 v46, v46                                 // 000000004410: 7E5C0B2E
	v_cvt_f32_i32_e32 v47, v47                                 // 000000004414: 7E5E0B2F
	v_mul_f32_dpp v44, v25, v44 row_newbcast:0 row_mask:0xf bank_mask:0xf// 000000004418: 0A5858FA FF015019
	v_mul_f32_dpp v45, v25, v45 row_newbcast:1 row_mask:0xf bank_mask:0xf// 000000004420: 0A5A5AFA FF015119
	v_mul_f32_dpp v46, v25, v46 row_newbcast:2 row_mask:0xf bank_mask:0xf// 000000004428: 0A5C5CFA FF015219
	v_mul_f32_dpp v47, v25, v47 row_newbcast:3 row_mask:0xf bank_mask:0xf// 000000004430: 0A5E5EFA FF015319
	v_cvt_f32_i32_e32 v48, v48                                 // 000000004438: 7E600B30
	v_cvt_f32_i32_e32 v49, v49                                 // 00000000443C: 7E620B31
	v_cvt_f32_i32_e32 v50, v50                                 // 000000004440: 7E640B32
	v_cvt_f32_i32_e32 v51, v51                                 // 000000004444: 7E660B33
	v_mul_f32_dpp v48, v25, v48 row_newbcast:4 row_mask:0xf bank_mask:0xf// 000000004448: 0A6060FA FF015419
	v_mul_f32_dpp v49, v25, v49 row_newbcast:5 row_mask:0xf bank_mask:0xf// 000000004450: 0A6262FA FF015519
	v_mul_f32_dpp v50, v25, v50 row_newbcast:6 row_mask:0xf bank_mask:0xf// 000000004458: 0A6464FA FF015619
	v_mul_f32_dpp v51, v25, v51 row_newbcast:7 row_mask:0xf bank_mask:0xf// 000000004460: 0A6666FA FF015719
	v_cvt_f32_i32_e32 v52, v52                                 // 000000004468: 7E680B34
	v_cvt_f32_i32_e32 v53, v53                                 // 00000000446C: 7E6A0B35
	v_cvt_f32_i32_e32 v54, v54                                 // 000000004470: 7E6C0B36
	v_cvt_f32_i32_e32 v55, v55                                 // 000000004474: 7E6E0B37
	v_mul_f32_dpp v52, v25, v52 row_newbcast:8 row_mask:0xf bank_mask:0xf// 000000004478: 0A6868FA FF015819
	v_mul_f32_dpp v53, v25, v53 row_newbcast:9 row_mask:0xf bank_mask:0xf// 000000004480: 0A6A6AFA FF015919
	v_mul_f32_dpp v54, v25, v54 row_newbcast:10 row_mask:0xf bank_mask:0xf// 000000004488: 0A6C6CFA FF015A19
	v_mul_f32_dpp v55, v25, v55 row_newbcast:11 row_mask:0xf bank_mask:0xf// 000000004490: 0A6E6EFA FF015B19
	v_cvt_f32_i32_e32 v56, v56                                 // 000000004498: 7E700B38
	v_cvt_f32_i32_e32 v57, v57                                 // 00000000449C: 7E720B39
	v_cvt_f32_i32_e32 v58, v58                                 // 0000000044A0: 7E740B3A
	v_cvt_f32_i32_e32 v59, v59                                 // 0000000044A4: 7E760B3B
	v_mul_f32_dpp v56, v25, v56 row_newbcast:12 row_mask:0xf bank_mask:0xf// 0000000044A8: 0A7070FA FF015C19
	v_mul_f32_dpp v57, v25, v57 row_newbcast:13 row_mask:0xf bank_mask:0xf// 0000000044B0: 0A7272FA FF015D19
	v_mul_f32_dpp v58, v25, v58 row_newbcast:14 row_mask:0xf bank_mask:0xf// 0000000044B8: 0A7474FA FF015E19
	v_mul_f32_dpp v59, v25, v59 row_newbcast:15 row_mask:0xf bank_mask:0xf// 0000000044C0: 0A7676FA FF015F19
	v_cvt_f32_i32_e32 v60, v60                                 // 0000000044C8: 7E780B3C
	v_cvt_f32_i32_e32 v61, v61                                 // 0000000044CC: 7E7A0B3D
	v_cvt_f32_i32_e32 v62, v62                                 // 0000000044D0: 7E7C0B3E
	v_cvt_f32_i32_e32 v63, v63                                 // 0000000044D4: 7E7E0B3F
	v_mul_f32_dpp v60, v26, v60 row_newbcast:0 row_mask:0xf bank_mask:0xf// 0000000044D8: 0A7878FA FF01501A
	v_mul_f32_dpp v61, v26, v61 row_newbcast:1 row_mask:0xf bank_mask:0xf// 0000000044E0: 0A7A7AFA FF01511A
	v_mul_f32_dpp v62, v26, v62 row_newbcast:2 row_mask:0xf bank_mask:0xf// 0000000044E8: 0A7C7CFA FF01521A
	v_mul_f32_dpp v63, v26, v63 row_newbcast:3 row_mask:0xf bank_mask:0xf// 0000000044F0: 0A7E7EFA FF01531A
	v_cvt_f32_i32_e32 v64, v64                                 // 0000000044F8: 7E800B40
	v_cvt_f32_i32_e32 v65, v65                                 // 0000000044FC: 7E820B41
	v_cvt_f32_i32_e32 v66, v66                                 // 000000004500: 7E840B42
	v_cvt_f32_i32_e32 v67, v67                                 // 000000004504: 7E860B43
	v_mul_f32_dpp v64, v26, v64 row_newbcast:4 row_mask:0xf bank_mask:0xf// 000000004508: 0A8080FA FF01541A
	v_mul_f32_dpp v65, v26, v65 row_newbcast:5 row_mask:0xf bank_mask:0xf// 000000004510: 0A8282FA FF01551A
	v_mul_f32_dpp v66, v26, v66 row_newbcast:6 row_mask:0xf bank_mask:0xf// 000000004518: 0A8484FA FF01561A
	v_mul_f32_dpp v67, v26, v67 row_newbcast:7 row_mask:0xf bank_mask:0xf// 000000004520: 0A8686FA FF01571A
	v_cvt_f32_i32_e32 v68, v68                                 // 000000004528: 7E880B44
	v_cvt_f32_i32_e32 v69, v69                                 // 00000000452C: 7E8A0B45
	v_cvt_f32_i32_e32 v70, v70                                 // 000000004530: 7E8C0B46
	v_cvt_f32_i32_e32 v71, v71                                 // 000000004534: 7E8E0B47
	v_mul_f32_dpp v68, v28, v68 row_newbcast:0 row_mask:0xf bank_mask:0xf// 000000004538: 0A8888FA FF01501C
	v_mul_f32_dpp v69, v28, v69 row_newbcast:1 row_mask:0xf bank_mask:0xf// 000000004540: 0A8A8AFA FF01511C
	v_mul_f32_dpp v70, v28, v70 row_newbcast:2 row_mask:0xf bank_mask:0xf// 000000004548: 0A8C8CFA FF01521C
	v_mul_f32_dpp v71, v28, v71 row_newbcast:3 row_mask:0xf bank_mask:0xf// 000000004550: 0A8E8EFA FF01531C
	v_cvt_f32_i32_e32 v72, v72                                 // 000000004558: 7E900B48
	v_cvt_f32_i32_e32 v73, v73                                 // 00000000455C: 7E920B49
	v_cvt_f32_i32_e32 v74, v74                                 // 000000004560: 7E940B4A
	v_cvt_f32_i32_e32 v75, v75                                 // 000000004564: 7E960B4B
	v_mul_f32_dpp v72, v28, v72 row_newbcast:4 row_mask:0xf bank_mask:0xf// 000000004568: 0A9090FA FF01541C
	v_mul_f32_dpp v73, v28, v73 row_newbcast:5 row_mask:0xf bank_mask:0xf// 000000004570: 0A9292FA FF01551C
	v_mul_f32_dpp v74, v28, v74 row_newbcast:6 row_mask:0xf bank_mask:0xf// 000000004578: 0A9494FA FF01561C
	v_mul_f32_dpp v75, v28, v75 row_newbcast:7 row_mask:0xf bank_mask:0xf// 000000004580: 0A9696FA FF01571C
	v_cvt_f32_i32_e32 v76, v76                                 // 000000004588: 7E980B4C
	v_cvt_f32_i32_e32 v77, v77                                 // 00000000458C: 7E9A0B4D
	v_cvt_f32_i32_e32 v78, v78                                 // 000000004590: 7E9C0B4E
	v_cvt_f32_i32_e32 v79, v79                                 // 000000004594: 7E9E0B4F
	v_mul_f32_dpp v76, v28, v76 row_newbcast:8 row_mask:0xf bank_mask:0xf// 000000004598: 0A9898FA FF01581C
	v_mul_f32_dpp v77, v28, v77 row_newbcast:9 row_mask:0xf bank_mask:0xf// 0000000045A0: 0A9A9AFA FF01591C
	v_mul_f32_dpp v78, v28, v78 row_newbcast:10 row_mask:0xf bank_mask:0xf// 0000000045A8: 0A9C9CFA FF015A1C
	v_mul_f32_dpp v79, v28, v79 row_newbcast:11 row_mask:0xf bank_mask:0xf// 0000000045B0: 0A9E9EFA FF015B1C
	v_cvt_f32_i32_e32 v80, v80                                 // 0000000045B8: 7EA00B50
	v_cvt_f32_i32_e32 v81, v81                                 // 0000000045BC: 7EA20B51
	v_cvt_f32_i32_e32 v82, v82                                 // 0000000045C0: 7EA40B52
	v_cvt_f32_i32_e32 v83, v83                                 // 0000000045C4: 7EA60B53
	v_mul_f32_dpp v80, v28, v80 row_newbcast:12 row_mask:0xf bank_mask:0xf// 0000000045C8: 0AA0A0FA FF015C1C
	v_mul_f32_dpp v81, v28, v81 row_newbcast:13 row_mask:0xf bank_mask:0xf// 0000000045D0: 0AA2A2FA FF015D1C
	v_mul_f32_dpp v82, v28, v82 row_newbcast:14 row_mask:0xf bank_mask:0xf// 0000000045D8: 0AA4A4FA FF015E1C
	v_mul_f32_dpp v83, v28, v83 row_newbcast:15 row_mask:0xf bank_mask:0xf// 0000000045E0: 0AA6A6FA FF015F1C
	v_cvt_f32_i32_e32 v84, v84                                 // 0000000045E8: 7EA80B54
	v_cvt_f32_i32_e32 v85, v85                                 // 0000000045EC: 7EAA0B55
	v_cvt_f32_i32_e32 v86, v86                                 // 0000000045F0: 7EAC0B56
	v_cvt_f32_i32_e32 v87, v87                                 // 0000000045F4: 7EAE0B57
	v_mul_f32_dpp v84, v29, v84 row_newbcast:0 row_mask:0xf bank_mask:0xf// 0000000045F8: 0AA8A8FA FF01501D
	v_mul_f32_dpp v85, v29, v85 row_newbcast:1 row_mask:0xf bank_mask:0xf// 000000004600: 0AAAAAFA FF01511D
	v_mul_f32_dpp v86, v29, v86 row_newbcast:2 row_mask:0xf bank_mask:0xf// 000000004608: 0AACACFA FF01521D
	v_mul_f32_dpp v87, v29, v87 row_newbcast:3 row_mask:0xf bank_mask:0xf// 000000004610: 0AAEAEFA FF01531D
	v_cvt_f32_i32_e32 v88, v88                                 // 000000004618: 7EB00B58
	v_cvt_f32_i32_e32 v89, v89                                 // 00000000461C: 7EB20B59
	v_cvt_f32_i32_e32 v90, v90                                 // 000000004620: 7EB40B5A
	v_cvt_f32_i32_e32 v91, v91                                 // 000000004624: 7EB60B5B
	v_mul_f32_dpp v88, v29, v88 row_newbcast:4 row_mask:0xf bank_mask:0xf// 000000004628: 0AB0B0FA FF01541D
	v_mul_f32_dpp v89, v29, v89 row_newbcast:5 row_mask:0xf bank_mask:0xf// 000000004630: 0AB2B2FA FF01551D
	v_mul_f32_dpp v90, v29, v90 row_newbcast:6 row_mask:0xf bank_mask:0xf// 000000004638: 0AB4B4FA FF01561D
	v_mul_f32_dpp v91, v29, v91 row_newbcast:7 row_mask:0xf bank_mask:0xf// 000000004640: 0AB6B6FA FF01571D
	v_mov_b32_e32 v4, v32                                      // 000000004648: 7E080320
	v_mov_b32_e32 v5, v4                                       // 00000000464C: 7E0A0304
	v_pk_mul_f32 v[44:45], v[4:5], v[44:45]                    // 000000004650: D3B1402C 18025904
	v_pk_mul_f32 v[68:69], v[4:5], v[68:69]                    // 000000004658: D3B14044 18028904
	v_pk_mul_f32 v[46:47], v[4:5], v[46:47]                    // 000000004660: D3B1402E 18025D04
	v_pk_mul_f32 v[70:71], v[4:5], v[70:71]                    // 000000004668: D3B14046 18028D04
	v_pk_mul_f32 v[48:49], v[4:5], v[48:49]                    // 000000004670: D3B14030 18026104
	v_pk_mul_f32 v[72:73], v[4:5], v[72:73]                    // 000000004678: D3B14048 18029104
	v_pk_mul_f32 v[50:51], v[4:5], v[50:51]                    // 000000004680: D3B14032 18026504
	v_pk_mul_f32 v[74:75], v[4:5], v[74:75]                    // 000000004688: D3B1404A 18029504
	v_pk_mul_f32 v[52:53], v[4:5], v[52:53]                    // 000000004690: D3B14034 18026904
	v_pk_mul_f32 v[76:77], v[4:5], v[76:77]                    // 000000004698: D3B1404C 18029904
	v_pk_mul_f32 v[54:55], v[4:5], v[54:55]                    // 0000000046A0: D3B14036 18026D04
	v_pk_mul_f32 v[78:79], v[4:5], v[78:79]                    // 0000000046A8: D3B1404E 18029D04
	v_pk_mul_f32 v[56:57], v[4:5], v[56:57]                    // 0000000046B0: D3B14038 18027104
	v_pk_mul_f32 v[80:81], v[4:5], v[80:81]                    // 0000000046B8: D3B14050 1802A104
	v_pk_mul_f32 v[58:59], v[4:5], v[58:59]                    // 0000000046C0: D3B1403A 18027504
	v_pk_mul_f32 v[82:83], v[4:5], v[82:83]                    // 0000000046C8: D3B14052 1802A504
	v_pk_mul_f32 v[60:61], v[4:5], v[60:61]                    // 0000000046D0: D3B1403C 18027904
	v_pk_mul_f32 v[84:85], v[4:5], v[84:85]                    // 0000000046D8: D3B14054 1802A904
	v_pk_mul_f32 v[62:63], v[4:5], v[62:63]                    // 0000000046E0: D3B1403E 18027D04
	v_pk_mul_f32 v[86:87], v[4:5], v[86:87]                    // 0000000046E8: D3B14056 1802AD04
	v_pk_mul_f32 v[64:65], v[4:5], v[64:65]                    // 0000000046F0: D3B14040 18028104
	v_pk_mul_f32 v[88:89], v[4:5], v[88:89]                    // 0000000046F8: D3B14058 1802B104
	v_pk_mul_f32 v[66:67], v[4:5], v[66:67]                    // 000000004700: D3B14042 18028504
	v_pk_mul_f32 v[90:91], v[4:5], v[90:91]                    // 000000004708: D3B1405A 1802B504
	s_cmp_eq_u32 s88, 0                                        // 000000004710: BF068058
	s_cbranch_scc0 label_09C7                                  // 000000004714: BF840301
	s_cmp_eq_u32 s89, 0                                        // 000000004718: BF068059
	s_cbranch_scc1 label_07BD                                  // 00000000471C: BF8500F5
	v_mov_b32_e32 v8, v1                                       // 000000004720: 7E100301
	v_mov_b32_e32 v9, v1                                       // 000000004724: 7E120301
	s_mov_b32 s60, s6                                          // 000000004728: BEBC0006
	s_mov_b32 s61, s6                                          // 00000000472C: BEBD0006
	v_pk_mul_f32 v[4:5], v[44:45], v[44:45]                    // 000000004730: D3B14004 1802592C
	v_pk_mul_f32 v[6:7], v[46:47], v[46:47]                    // 000000004738: D3B14006 18025D2E
	v_pk_fma_f32 v[4:5], v[4:5], s[78:79], v[8:9]              // 000000004740: D3B04004 1C209D04
	v_pk_fma_f32 v[6:7], v[6:7], s[78:79], v[8:9]              // 000000004748: D3B04006 1C209D06
	v_pk_mul_f32 v[4:5], v[4:5], v[44:45]                      // 000000004750: D3B14004 18025904
	v_pk_mul_f32 v[6:7], v[6:7], v[46:47]                      // 000000004758: D3B14006 18025D06
	v_pk_mul_f32 v[4:5], v[4:5], s[60:61]                      // 000000004760: D3B14004 18007904
	v_pk_mul_f32 v[6:7], v[6:7], s[60:61]                      // 000000004768: D3B14006 18007906
	v_exp_f32_e32 v4, v4                                       // 000000004770: 7E084104
	v_exp_f32_e32 v5, v5                                       // 000000004774: 7E0A4105
	v_exp_f32_e32 v6, v6                                       // 000000004778: 7E0C4106
	v_exp_f32_e32 v7, v7                                       // 00000000477C: 7E0E4107
	v_add_f32_e64 v4, v4, 1.0                                  // 000000004780: D1010004 0001E504
	v_add_f32_e64 v5, v5, 1.0                                  // 000000004788: D1010005 0001E505
	v_add_f32_e64 v6, v6, 1.0                                  // 000000004790: D1010006 0001E506
	v_add_f32_e64 v7, v7, 1.0                                  // 000000004798: D1010007 0001E507
	v_rcp_f32_e32 v4, v4                                       // 0000000047A0: 7E084504
	v_rcp_f32_e32 v5, v5                                       // 0000000047A4: 7E0A4505
	v_rcp_f32_e32 v6, v6                                       // 0000000047A8: 7E0C4506
	v_rcp_f32_e32 v7, v7                                       // 0000000047AC: 7E0E4507
	v_mul_f32_e32 v44, v44, v4                                 // 0000000047B0: 0A58092C
	v_mul_f32_e32 v45, v45, v5                                 // 0000000047B4: 0A5A0B2D
	v_mul_f32_e32 v46, v46, v6                                 // 0000000047B8: 0A5C0D2E
	v_mul_f32_e32 v47, v47, v7                                 // 0000000047BC: 0A5E0F2F
	v_mul_f32_e32 v44, v44, v68                                // 0000000047C0: 0A58892C
	v_mul_f32_e32 v45, v45, v69                                // 0000000047C4: 0A5A8B2D
	v_mul_f32_e32 v46, v46, v70                                // 0000000047C8: 0A5C8D2E
	v_mul_f32_e32 v47, v47, v71                                // 0000000047CC: 0A5E8F2F
	v_pk_mul_f32 v[4:5], v[48:49], v[48:49]                    // 0000000047D0: D3B14004 18026130
	v_pk_mul_f32 v[6:7], v[50:51], v[50:51]                    // 0000000047D8: D3B14006 18026532
	v_pk_fma_f32 v[4:5], v[4:5], s[78:79], v[8:9]              // 0000000047E0: D3B04004 1C209D04
	v_pk_fma_f32 v[6:7], v[6:7], s[78:79], v[8:9]              // 0000000047E8: D3B04006 1C209D06
	v_pk_mul_f32 v[4:5], v[4:5], v[48:49]                      // 0000000047F0: D3B14004 18026104
	v_pk_mul_f32 v[6:7], v[6:7], v[50:51]                      // 0000000047F8: D3B14006 18026506
	v_pk_mul_f32 v[4:5], v[4:5], s[60:61]                      // 000000004800: D3B14004 18007904
	v_pk_mul_f32 v[6:7], v[6:7], s[60:61]                      // 000000004808: D3B14006 18007906
	v_exp_f32_e32 v4, v4                                       // 000000004810: 7E084104
	v_exp_f32_e32 v5, v5                                       // 000000004814: 7E0A4105
	v_exp_f32_e32 v6, v6                                       // 000000004818: 7E0C4106
	v_exp_f32_e32 v7, v7                                       // 00000000481C: 7E0E4107
	v_add_f32_e64 v4, v4, 1.0                                  // 000000004820: D1010004 0001E504
	v_add_f32_e64 v5, v5, 1.0                                  // 000000004828: D1010005 0001E505
	v_add_f32_e64 v6, v6, 1.0                                  // 000000004830: D1010006 0001E506
	v_add_f32_e64 v7, v7, 1.0                                  // 000000004838: D1010007 0001E507
	v_rcp_f32_e32 v4, v4                                       // 000000004840: 7E084504
	v_rcp_f32_e32 v5, v5                                       // 000000004844: 7E0A4505
	v_rcp_f32_e32 v6, v6                                       // 000000004848: 7E0C4506
	v_rcp_f32_e32 v7, v7                                       // 00000000484C: 7E0E4507
	v_mul_f32_e32 v48, v48, v4                                 // 000000004850: 0A600930
	v_mul_f32_e32 v49, v49, v5                                 // 000000004854: 0A620B31
	v_mul_f32_e32 v50, v50, v6                                 // 000000004858: 0A640D32
	v_mul_f32_e32 v51, v51, v7                                 // 00000000485C: 0A660F33
	v_mul_f32_e32 v48, v48, v72                                // 000000004860: 0A609130
	v_mul_f32_e32 v49, v49, v73                                // 000000004864: 0A629331
	v_mul_f32_e32 v50, v50, v74                                // 000000004868: 0A649532
	v_mul_f32_e32 v51, v51, v75                                // 00000000486C: 0A669733
	v_pk_mul_f32 v[4:5], v[52:53], v[52:53]                    // 000000004870: D3B14004 18026934
	v_pk_mul_f32 v[6:7], v[54:55], v[54:55]                    // 000000004878: D3B14006 18026D36
	v_pk_fma_f32 v[4:5], v[4:5], s[78:79], v[8:9]              // 000000004880: D3B04004 1C209D04
	v_pk_fma_f32 v[6:7], v[6:7], s[78:79], v[8:9]              // 000000004888: D3B04006 1C209D06
	v_pk_mul_f32 v[4:5], v[4:5], v[52:53]                      // 000000004890: D3B14004 18026904
	v_pk_mul_f32 v[6:7], v[6:7], v[54:55]                      // 000000004898: D3B14006 18026D06
	v_pk_mul_f32 v[4:5], v[4:5], s[60:61]                      // 0000000048A0: D3B14004 18007904
	v_pk_mul_f32 v[6:7], v[6:7], s[60:61]                      // 0000000048A8: D3B14006 18007906
	v_exp_f32_e32 v4, v4                                       // 0000000048B0: 7E084104
	v_exp_f32_e32 v5, v5                                       // 0000000048B4: 7E0A4105
	v_exp_f32_e32 v6, v6                                       // 0000000048B8: 7E0C4106
	v_exp_f32_e32 v7, v7                                       // 0000000048BC: 7E0E4107
	v_add_f32_e64 v4, v4, 1.0                                  // 0000000048C0: D1010004 0001E504
	v_add_f32_e64 v5, v5, 1.0                                  // 0000000048C8: D1010005 0001E505
	v_add_f32_e64 v6, v6, 1.0                                  // 0000000048D0: D1010006 0001E506
	v_add_f32_e64 v7, v7, 1.0                                  // 0000000048D8: D1010007 0001E507
	v_rcp_f32_e32 v4, v4                                       // 0000000048E0: 7E084504
	v_rcp_f32_e32 v5, v5                                       // 0000000048E4: 7E0A4505
	v_rcp_f32_e32 v6, v6                                       // 0000000048E8: 7E0C4506
	v_rcp_f32_e32 v7, v7                                       // 0000000048EC: 7E0E4507
	v_mul_f32_e32 v52, v52, v4                                 // 0000000048F0: 0A680934
	v_mul_f32_e32 v53, v53, v5                                 // 0000000048F4: 0A6A0B35
	v_mul_f32_e32 v54, v54, v6                                 // 0000000048F8: 0A6C0D36
	v_mul_f32_e32 v55, v55, v7                                 // 0000000048FC: 0A6E0F37
	v_mul_f32_e32 v52, v52, v76                                // 000000004900: 0A689934
	v_mul_f32_e32 v53, v53, v77                                // 000000004904: 0A6A9B35
	v_mul_f32_e32 v54, v54, v78                                // 000000004908: 0A6C9D36
	v_mul_f32_e32 v55, v55, v79                                // 00000000490C: 0A6E9F37
	v_pk_mul_f32 v[4:5], v[56:57], v[56:57]                    // 000000004910: D3B14004 18027138
	v_pk_mul_f32 v[6:7], v[58:59], v[58:59]                    // 000000004918: D3B14006 1802753A
	v_pk_fma_f32 v[4:5], v[4:5], s[78:79], v[8:9]              // 000000004920: D3B04004 1C209D04
	v_pk_fma_f32 v[6:7], v[6:7], s[78:79], v[8:9]              // 000000004928: D3B04006 1C209D06
	v_pk_mul_f32 v[4:5], v[4:5], v[56:57]                      // 000000004930: D3B14004 18027104
	v_pk_mul_f32 v[6:7], v[6:7], v[58:59]                      // 000000004938: D3B14006 18027506
	v_pk_mul_f32 v[4:5], v[4:5], s[60:61]                      // 000000004940: D3B14004 18007904
	v_pk_mul_f32 v[6:7], v[6:7], s[60:61]                      // 000000004948: D3B14006 18007906
	v_exp_f32_e32 v4, v4                                       // 000000004950: 7E084104
	v_exp_f32_e32 v5, v5                                       // 000000004954: 7E0A4105
	v_exp_f32_e32 v6, v6                                       // 000000004958: 7E0C4106
	v_exp_f32_e32 v7, v7                                       // 00000000495C: 7E0E4107
	v_add_f32_e64 v4, v4, 1.0                                  // 000000004960: D1010004 0001E504
	v_add_f32_e64 v5, v5, 1.0                                  // 000000004968: D1010005 0001E505
	v_add_f32_e64 v6, v6, 1.0                                  // 000000004970: D1010006 0001E506
	v_add_f32_e64 v7, v7, 1.0                                  // 000000004978: D1010007 0001E507
	v_rcp_f32_e32 v4, v4                                       // 000000004980: 7E084504
	v_rcp_f32_e32 v5, v5                                       // 000000004984: 7E0A4505
	v_rcp_f32_e32 v6, v6                                       // 000000004988: 7E0C4506
	v_rcp_f32_e32 v7, v7                                       // 00000000498C: 7E0E4507
	v_mul_f32_e32 v56, v56, v4                                 // 000000004990: 0A700938
	v_mul_f32_e32 v57, v57, v5                                 // 000000004994: 0A720B39
	v_mul_f32_e32 v58, v58, v6                                 // 000000004998: 0A740D3A
	v_mul_f32_e32 v59, v59, v7                                 // 00000000499C: 0A760F3B
	v_mul_f32_e32 v56, v56, v80                                // 0000000049A0: 0A70A138
	v_mul_f32_e32 v57, v57, v81                                // 0000000049A4: 0A72A339
	v_mul_f32_e32 v58, v58, v82                                // 0000000049A8: 0A74A53A
	v_mul_f32_e32 v59, v59, v83                                // 0000000049AC: 0A76A73B
	v_pk_mul_f32 v[4:5], v[60:61], v[60:61]                    // 0000000049B0: D3B14004 1802793C
	v_pk_mul_f32 v[6:7], v[62:63], v[62:63]                    // 0000000049B8: D3B14006 18027D3E
	v_pk_fma_f32 v[4:5], v[4:5], s[78:79], v[8:9]              // 0000000049C0: D3B04004 1C209D04
	v_pk_fma_f32 v[6:7], v[6:7], s[78:79], v[8:9]              // 0000000049C8: D3B04006 1C209D06
	v_pk_mul_f32 v[4:5], v[4:5], v[60:61]                      // 0000000049D0: D3B14004 18027904
	v_pk_mul_f32 v[6:7], v[6:7], v[62:63]                      // 0000000049D8: D3B14006 18027D06
	v_pk_mul_f32 v[4:5], v[4:5], s[60:61]                      // 0000000049E0: D3B14004 18007904
	v_pk_mul_f32 v[6:7], v[6:7], s[60:61]                      // 0000000049E8: D3B14006 18007906
	v_exp_f32_e32 v4, v4                                       // 0000000049F0: 7E084104
	v_exp_f32_e32 v5, v5                                       // 0000000049F4: 7E0A4105
	v_exp_f32_e32 v6, v6                                       // 0000000049F8: 7E0C4106
	v_exp_f32_e32 v7, v7                                       // 0000000049FC: 7E0E4107
	v_add_f32_e64 v4, v4, 1.0                                  // 000000004A00: D1010004 0001E504
	v_add_f32_e64 v5, v5, 1.0                                  // 000000004A08: D1010005 0001E505
	v_add_f32_e64 v6, v6, 1.0                                  // 000000004A10: D1010006 0001E506
	v_add_f32_e64 v7, v7, 1.0                                  // 000000004A18: D1010007 0001E507
	v_rcp_f32_e32 v4, v4                                       // 000000004A20: 7E084504
	v_rcp_f32_e32 v5, v5                                       // 000000004A24: 7E0A4505
	v_rcp_f32_e32 v6, v6                                       // 000000004A28: 7E0C4506
	v_rcp_f32_e32 v7, v7                                       // 000000004A2C: 7E0E4507
	v_mul_f32_e32 v60, v60, v4                                 // 000000004A30: 0A78093C
	v_mul_f32_e32 v61, v61, v5                                 // 000000004A34: 0A7A0B3D
	v_mul_f32_e32 v62, v62, v6                                 // 000000004A38: 0A7C0D3E
	v_mul_f32_e32 v63, v63, v7                                 // 000000004A3C: 0A7E0F3F
	v_mul_f32_e32 v60, v60, v84                                // 000000004A40: 0A78A93C
	v_mul_f32_e32 v61, v61, v85                                // 000000004A44: 0A7AAB3D
	v_mul_f32_e32 v62, v62, v86                                // 000000004A48: 0A7CAD3E
	v_mul_f32_e32 v63, v63, v87                                // 000000004A4C: 0A7EAF3F
	v_pk_mul_f32 v[4:5], v[64:65], v[64:65]                    // 000000004A50: D3B14004 18028140
	v_pk_mul_f32 v[6:7], v[66:67], v[66:67]                    // 000000004A58: D3B14006 18028542
	v_pk_fma_f32 v[4:5], v[4:5], s[78:79], v[8:9]              // 000000004A60: D3B04004 1C209D04
	v_pk_fma_f32 v[6:7], v[6:7], s[78:79], v[8:9]              // 000000004A68: D3B04006 1C209D06
	v_pk_mul_f32 v[4:5], v[4:5], v[64:65]                      // 000000004A70: D3B14004 18028104
	v_pk_mul_f32 v[6:7], v[6:7], v[66:67]                      // 000000004A78: D3B14006 18028506
	v_pk_mul_f32 v[4:5], v[4:5], s[60:61]                      // 000000004A80: D3B14004 18007904
	v_pk_mul_f32 v[6:7], v[6:7], s[60:61]                      // 000000004A88: D3B14006 18007906
	v_exp_f32_e32 v4, v4                                       // 000000004A90: 7E084104
	v_exp_f32_e32 v5, v5                                       // 000000004A94: 7E0A4105
	v_exp_f32_e32 v6, v6                                       // 000000004A98: 7E0C4106
	v_exp_f32_e32 v7, v7                                       // 000000004A9C: 7E0E4107
	v_add_f32_e64 v4, v4, 1.0                                  // 000000004AA0: D1010004 0001E504
	v_add_f32_e64 v5, v5, 1.0                                  // 000000004AA8: D1010005 0001E505
	v_add_f32_e64 v6, v6, 1.0                                  // 000000004AB0: D1010006 0001E506
	v_add_f32_e64 v7, v7, 1.0                                  // 000000004AB8: D1010007 0001E507
	v_rcp_f32_e32 v4, v4                                       // 000000004AC0: 7E084504
	v_rcp_f32_e32 v5, v5                                       // 000000004AC4: 7E0A4505
	v_rcp_f32_e32 v6, v6                                       // 000000004AC8: 7E0C4506
	v_rcp_f32_e32 v7, v7                                       // 000000004ACC: 7E0E4507
	v_mul_f32_e32 v64, v64, v4                                 // 000000004AD0: 0A800940
	v_mul_f32_e32 v65, v65, v5                                 // 000000004AD4: 0A820B41
	v_mul_f32_e32 v66, v66, v6                                 // 000000004AD8: 0A840D42
	v_mul_f32_e32 v67, v67, v7                                 // 000000004ADC: 0A860F43
	v_mul_f32_e32 v64, v64, v88                                // 000000004AE0: 0A80B140
	v_mul_f32_e32 v65, v65, v89                                // 000000004AE4: 0A82B341
	v_mul_f32_e32 v66, v66, v90                                // 000000004AE8: 0A84B542
	v_mul_f32_e32 v67, v67, v91                                // 000000004AEC: 0A86B743
	s_branch label_087D                                        // 000000004AF0: BF8200C0

0000000000004af4 <label_07BD>:
	v_mul_f32_e64 v4, -v44, s6                                 // 000000004AF4: D1050004 20000D2C
	v_mul_f32_e64 v5, -v45, s6                                 // 000000004AFC: D1050005 20000D2D
	v_mul_f32_e64 v6, -v46, s6                                 // 000000004B04: D1050006 20000D2E
	v_mul_f32_e64 v7, -v47, s6                                 // 000000004B0C: D1050007 20000D2F
	v_exp_f32_e32 v4, v4                                       // 000000004B14: 7E084104
	v_exp_f32_e32 v5, v5                                       // 000000004B18: 7E0A4105
	v_exp_f32_e32 v6, v6                                       // 000000004B1C: 7E0C4106
	v_exp_f32_e32 v7, v7                                       // 000000004B20: 7E0E4107
	v_add_f32_e64 v4, v4, 1.0                                  // 000000004B24: D1010004 0001E504
	v_add_f32_e64 v5, v5, 1.0                                  // 000000004B2C: D1010005 0001E505
	v_add_f32_e64 v6, v6, 1.0                                  // 000000004B34: D1010006 0001E506
	v_add_f32_e64 v7, v7, 1.0                                  // 000000004B3C: D1010007 0001E507
	v_rcp_f32_e32 v4, v4                                       // 000000004B44: 7E084504
	v_rcp_f32_e32 v5, v5                                       // 000000004B48: 7E0A4505
	v_rcp_f32_e32 v6, v6                                       // 000000004B4C: 7E0C4506
	v_rcp_f32_e32 v7, v7                                       // 000000004B50: 7E0E4507
	v_mul_f32_e32 v44, v44, v4                                 // 000000004B54: 0A58092C
	v_mul_f32_e32 v45, v45, v5                                 // 000000004B58: 0A5A0B2D
	v_mul_f32_e32 v46, v46, v6                                 // 000000004B5C: 0A5C0D2E
	v_mul_f32_e32 v47, v47, v7                                 // 000000004B60: 0A5E0F2F
	v_mul_f32_e32 v44, v44, v68                                // 000000004B64: 0A58892C
	v_mul_f32_e32 v45, v45, v69                                // 000000004B68: 0A5A8B2D
	v_mul_f32_e32 v46, v46, v70                                // 000000004B6C: 0A5C8D2E
	v_mul_f32_e32 v47, v47, v71                                // 000000004B70: 0A5E8F2F
	v_mul_f32_e64 v4, -v48, s6                                 // 000000004B74: D1050004 20000D30
	v_mul_f32_e64 v5, -v49, s6                                 // 000000004B7C: D1050005 20000D31
	v_mul_f32_e64 v6, -v50, s6                                 // 000000004B84: D1050006 20000D32
	v_mul_f32_e64 v7, -v51, s6                                 // 000000004B8C: D1050007 20000D33
	v_exp_f32_e32 v4, v4                                       // 000000004B94: 7E084104
	v_exp_f32_e32 v5, v5                                       // 000000004B98: 7E0A4105
	v_exp_f32_e32 v6, v6                                       // 000000004B9C: 7E0C4106
	v_exp_f32_e32 v7, v7                                       // 000000004BA0: 7E0E4107
	v_add_f32_e64 v4, v4, 1.0                                  // 000000004BA4: D1010004 0001E504
	v_add_f32_e64 v5, v5, 1.0                                  // 000000004BAC: D1010005 0001E505
	v_add_f32_e64 v6, v6, 1.0                                  // 000000004BB4: D1010006 0001E506
	v_add_f32_e64 v7, v7, 1.0                                  // 000000004BBC: D1010007 0001E507
	v_rcp_f32_e32 v4, v4                                       // 000000004BC4: 7E084504
	v_rcp_f32_e32 v5, v5                                       // 000000004BC8: 7E0A4505
	v_rcp_f32_e32 v6, v6                                       // 000000004BCC: 7E0C4506
	v_rcp_f32_e32 v7, v7                                       // 000000004BD0: 7E0E4507
	v_mul_f32_e32 v48, v48, v4                                 // 000000004BD4: 0A600930
	v_mul_f32_e32 v49, v49, v5                                 // 000000004BD8: 0A620B31
	v_mul_f32_e32 v50, v50, v6                                 // 000000004BDC: 0A640D32
	v_mul_f32_e32 v51, v51, v7                                 // 000000004BE0: 0A660F33
	v_mul_f32_e32 v48, v48, v72                                // 000000004BE4: 0A609130
	v_mul_f32_e32 v49, v49, v73                                // 000000004BE8: 0A629331
	v_mul_f32_e32 v50, v50, v74                                // 000000004BEC: 0A649532
	v_mul_f32_e32 v51, v51, v75                                // 000000004BF0: 0A669733
	v_mul_f32_e64 v4, -v52, s6                                 // 000000004BF4: D1050004 20000D34
	v_mul_f32_e64 v5, -v53, s6                                 // 000000004BFC: D1050005 20000D35
	v_mul_f32_e64 v6, -v54, s6                                 // 000000004C04: D1050006 20000D36
	v_mul_f32_e64 v7, -v55, s6                                 // 000000004C0C: D1050007 20000D37
	v_exp_f32_e32 v4, v4                                       // 000000004C14: 7E084104
	v_exp_f32_e32 v5, v5                                       // 000000004C18: 7E0A4105
	v_exp_f32_e32 v6, v6                                       // 000000004C1C: 7E0C4106
	v_exp_f32_e32 v7, v7                                       // 000000004C20: 7E0E4107
	v_add_f32_e64 v4, v4, 1.0                                  // 000000004C24: D1010004 0001E504
	v_add_f32_e64 v5, v5, 1.0                                  // 000000004C2C: D1010005 0001E505
	v_add_f32_e64 v6, v6, 1.0                                  // 000000004C34: D1010006 0001E506
	v_add_f32_e64 v7, v7, 1.0                                  // 000000004C3C: D1010007 0001E507
	v_rcp_f32_e32 v4, v4                                       // 000000004C44: 7E084504
	v_rcp_f32_e32 v5, v5                                       // 000000004C48: 7E0A4505
	v_rcp_f32_e32 v6, v6                                       // 000000004C4C: 7E0C4506
	v_rcp_f32_e32 v7, v7                                       // 000000004C50: 7E0E4507
	v_mul_f32_e32 v52, v52, v4                                 // 000000004C54: 0A680934
	v_mul_f32_e32 v53, v53, v5                                 // 000000004C58: 0A6A0B35
	v_mul_f32_e32 v54, v54, v6                                 // 000000004C5C: 0A6C0D36
	v_mul_f32_e32 v55, v55, v7                                 // 000000004C60: 0A6E0F37
	v_mul_f32_e32 v52, v52, v76                                // 000000004C64: 0A689934
	v_mul_f32_e32 v53, v53, v77                                // 000000004C68: 0A6A9B35
	v_mul_f32_e32 v54, v54, v78                                // 000000004C6C: 0A6C9D36
	v_mul_f32_e32 v55, v55, v79                                // 000000004C70: 0A6E9F37
	v_mul_f32_e64 v4, -v56, s6                                 // 000000004C74: D1050004 20000D38
	v_mul_f32_e64 v5, -v57, s6                                 // 000000004C7C: D1050005 20000D39
	v_mul_f32_e64 v6, -v58, s6                                 // 000000004C84: D1050006 20000D3A
	v_mul_f32_e64 v7, -v59, s6                                 // 000000004C8C: D1050007 20000D3B
	v_exp_f32_e32 v4, v4                                       // 000000004C94: 7E084104
	v_exp_f32_e32 v5, v5                                       // 000000004C98: 7E0A4105
	v_exp_f32_e32 v6, v6                                       // 000000004C9C: 7E0C4106
	v_exp_f32_e32 v7, v7                                       // 000000004CA0: 7E0E4107
	v_add_f32_e64 v4, v4, 1.0                                  // 000000004CA4: D1010004 0001E504
	v_add_f32_e64 v5, v5, 1.0                                  // 000000004CAC: D1010005 0001E505
	v_add_f32_e64 v6, v6, 1.0                                  // 000000004CB4: D1010006 0001E506
	v_add_f32_e64 v7, v7, 1.0                                  // 000000004CBC: D1010007 0001E507
	v_rcp_f32_e32 v4, v4                                       // 000000004CC4: 7E084504
	v_rcp_f32_e32 v5, v5                                       // 000000004CC8: 7E0A4505
	v_rcp_f32_e32 v6, v6                                       // 000000004CCC: 7E0C4506
	v_rcp_f32_e32 v7, v7                                       // 000000004CD0: 7E0E4507
	v_mul_f32_e32 v56, v56, v4                                 // 000000004CD4: 0A700938
	v_mul_f32_e32 v57, v57, v5                                 // 000000004CD8: 0A720B39
	v_mul_f32_e32 v58, v58, v6                                 // 000000004CDC: 0A740D3A
	v_mul_f32_e32 v59, v59, v7                                 // 000000004CE0: 0A760F3B
	v_mul_f32_e32 v56, v56, v80                                // 000000004CE4: 0A70A138
	v_mul_f32_e32 v57, v57, v81                                // 000000004CE8: 0A72A339
	v_mul_f32_e32 v58, v58, v82                                // 000000004CEC: 0A74A53A
	v_mul_f32_e32 v59, v59, v83                                // 000000004CF0: 0A76A73B
	v_mul_f32_e64 v4, -v60, s6                                 // 000000004CF4: D1050004 20000D3C
	v_mul_f32_e64 v5, -v61, s6                                 // 000000004CFC: D1050005 20000D3D
	v_mul_f32_e64 v6, -v62, s6                                 // 000000004D04: D1050006 20000D3E
	v_mul_f32_e64 v7, -v63, s6                                 // 000000004D0C: D1050007 20000D3F
	v_exp_f32_e32 v4, v4                                       // 000000004D14: 7E084104
	v_exp_f32_e32 v5, v5                                       // 000000004D18: 7E0A4105
	v_exp_f32_e32 v6, v6                                       // 000000004D1C: 7E0C4106
	v_exp_f32_e32 v7, v7                                       // 000000004D20: 7E0E4107
	v_add_f32_e64 v4, v4, 1.0                                  // 000000004D24: D1010004 0001E504
	v_add_f32_e64 v5, v5, 1.0                                  // 000000004D2C: D1010005 0001E505
	v_add_f32_e64 v6, v6, 1.0                                  // 000000004D34: D1010006 0001E506
	v_add_f32_e64 v7, v7, 1.0                                  // 000000004D3C: D1010007 0001E507
	v_rcp_f32_e32 v4, v4                                       // 000000004D44: 7E084504
	v_rcp_f32_e32 v5, v5                                       // 000000004D48: 7E0A4505
	v_rcp_f32_e32 v6, v6                                       // 000000004D4C: 7E0C4506
	v_rcp_f32_e32 v7, v7                                       // 000000004D50: 7E0E4507
	v_mul_f32_e32 v60, v60, v4                                 // 000000004D54: 0A78093C
	v_mul_f32_e32 v61, v61, v5                                 // 000000004D58: 0A7A0B3D
	v_mul_f32_e32 v62, v62, v6                                 // 000000004D5C: 0A7C0D3E
	v_mul_f32_e32 v63, v63, v7                                 // 000000004D60: 0A7E0F3F
	v_mul_f32_e32 v60, v60, v84                                // 000000004D64: 0A78A93C
	v_mul_f32_e32 v61, v61, v85                                // 000000004D68: 0A7AAB3D
	v_mul_f32_e32 v62, v62, v86                                // 000000004D6C: 0A7CAD3E
	v_mul_f32_e32 v63, v63, v87                                // 000000004D70: 0A7EAF3F
	v_mul_f32_e64 v4, -v64, s6                                 // 000000004D74: D1050004 20000D40
	v_mul_f32_e64 v5, -v65, s6                                 // 000000004D7C: D1050005 20000D41
	v_mul_f32_e64 v6, -v66, s6                                 // 000000004D84: D1050006 20000D42
	v_mul_f32_e64 v7, -v67, s6                                 // 000000004D8C: D1050007 20000D43
	v_exp_f32_e32 v4, v4                                       // 000000004D94: 7E084104
	v_exp_f32_e32 v5, v5                                       // 000000004D98: 7E0A4105
	v_exp_f32_e32 v6, v6                                       // 000000004D9C: 7E0C4106
	v_exp_f32_e32 v7, v7                                       // 000000004DA0: 7E0E4107
	v_add_f32_e64 v4, v4, 1.0                                  // 000000004DA4: D1010004 0001E504
	v_add_f32_e64 v5, v5, 1.0                                  // 000000004DAC: D1010005 0001E505
	v_add_f32_e64 v6, v6, 1.0                                  // 000000004DB4: D1010006 0001E506
	v_add_f32_e64 v7, v7, 1.0                                  // 000000004DBC: D1010007 0001E507
	v_rcp_f32_e32 v4, v4                                       // 000000004DC4: 7E084504
	v_rcp_f32_e32 v5, v5                                       // 000000004DC8: 7E0A4505
	v_rcp_f32_e32 v6, v6                                       // 000000004DCC: 7E0C4506
	v_rcp_f32_e32 v7, v7                                       // 000000004DD0: 7E0E4507
	v_mul_f32_e32 v64, v64, v4                                 // 000000004DD4: 0A800940
	v_mul_f32_e32 v65, v65, v5                                 // 000000004DD8: 0A820B41
	v_mul_f32_e32 v66, v66, v6                                 // 000000004DDC: 0A840D42
	v_mul_f32_e32 v67, v67, v7                                 // 000000004DE0: 0A860F43
	v_mul_f32_e32 v64, v64, v88                                // 000000004DE4: 0A80B140
	v_mul_f32_e32 v65, v65, v89                                // 000000004DE8: 0A82B341
	v_mul_f32_e32 v66, v66, v90                                // 000000004DEC: 0A84B542
	v_mul_f32_e32 v67, v67, v91                                // 000000004DF0: 0A86B743

0000000000004df4 <label_087D>:
	v_cmp_u_f32_e64 s[46:47], v44, v44                         // 000000004DF4: D048002E 0002592C
	v_add3_u32 v16, v44, v19, 1                                // 000000004DFC: D1FF0010 0206272C
	v_cndmask_b32_e64 v4, v16, v18, s[46:47]                   // 000000004E04: D1000004 00BA2510
	v_cmp_u_f32_e64 s[46:47], v45, v45                         // 000000004E0C: D048002E 00025B2D
	v_add3_u32 v16, v45, v19, 1                                // 000000004E14: D1FF0010 0206272D
	v_cndmask_b32_e64 v5, v16, v18, s[46:47]                   // 000000004E1C: D1000005 00BA2510
	v_perm_b32 v44, v5, v4, s52                                // 000000004E24: D1ED002C 00D20905
	v_cmp_u_f32_e64 s[46:47], v46, v46                         // 000000004E2C: D048002E 00025D2E
	v_add3_u32 v16, v46, v19, 1                                // 000000004E34: D1FF0010 0206272E
	v_cndmask_b32_e64 v4, v16, v18, s[46:47]                   // 000000004E3C: D1000004 00BA2510
	v_cmp_u_f32_e64 s[46:47], v47, v47                         // 000000004E44: D048002E 00025F2F
	v_add3_u32 v16, v47, v19, 1                                // 000000004E4C: D1FF0010 0206272F
	v_cndmask_b32_e64 v5, v16, v18, s[46:47]                   // 000000004E54: D1000005 00BA2510
	v_perm_b32 v45, v5, v4, s52                                // 000000004E5C: D1ED002D 00D20905
	v_cmp_u_f32_e64 s[46:47], v48, v48                         // 000000004E64: D048002E 00026130
	v_add3_u32 v16, v48, v19, 1                                // 000000004E6C: D1FF0010 02062730
	v_cndmask_b32_e64 v4, v16, v18, s[46:47]                   // 000000004E74: D1000004 00BA2510
	v_cmp_u_f32_e64 s[46:47], v49, v49                         // 000000004E7C: D048002E 00026331
	v_add3_u32 v16, v49, v19, 1                                // 000000004E84: D1FF0010 02062731
	v_cndmask_b32_e64 v5, v16, v18, s[46:47]                   // 000000004E8C: D1000005 00BA2510
	v_perm_b32 v46, v5, v4, s52                                // 000000004E94: D1ED002E 00D20905
	v_cmp_u_f32_e64 s[46:47], v50, v50                         // 000000004E9C: D048002E 00026532
	v_add3_u32 v16, v50, v19, 1                                // 000000004EA4: D1FF0010 02062732
	v_cndmask_b32_e64 v4, v16, v18, s[46:47]                   // 000000004EAC: D1000004 00BA2510
	v_cmp_u_f32_e64 s[46:47], v51, v51                         // 000000004EB4: D048002E 00026733
	v_add3_u32 v16, v51, v19, 1                                // 000000004EBC: D1FF0010 02062733
	v_cndmask_b32_e64 v5, v16, v18, s[46:47]                   // 000000004EC4: D1000005 00BA2510
	v_perm_b32 v47, v5, v4, s52                                // 000000004ECC: D1ED002F 00D20905
	v_cmp_u_f32_e64 s[46:47], v52, v52                         // 000000004ED4: D048002E 00026934
	v_add3_u32 v16, v52, v19, 1                                // 000000004EDC: D1FF0010 02062734
	v_cndmask_b32_e64 v4, v16, v18, s[46:47]                   // 000000004EE4: D1000004 00BA2510
	v_cmp_u_f32_e64 s[46:47], v53, v53                         // 000000004EEC: D048002E 00026B35
	v_add3_u32 v16, v53, v19, 1                                // 000000004EF4: D1FF0010 02062735
	v_cndmask_b32_e64 v5, v16, v18, s[46:47]                   // 000000004EFC: D1000005 00BA2510
	v_perm_b32 v48, v5, v4, s52                                // 000000004F04: D1ED0030 00D20905
	v_cmp_u_f32_e64 s[46:47], v54, v54                         // 000000004F0C: D048002E 00026D36
	v_add3_u32 v16, v54, v19, 1                                // 000000004F14: D1FF0010 02062736
	v_cndmask_b32_e64 v4, v16, v18, s[46:47]                   // 000000004F1C: D1000004 00BA2510
	v_cmp_u_f32_e64 s[46:47], v55, v55                         // 000000004F24: D048002E 00026F37
	v_add3_u32 v16, v55, v19, 1                                // 000000004F2C: D1FF0010 02062737
	v_cndmask_b32_e64 v5, v16, v18, s[46:47]                   // 000000004F34: D1000005 00BA2510
	v_perm_b32 v49, v5, v4, s52                                // 000000004F3C: D1ED0031 00D20905
	v_cmp_u_f32_e64 s[46:47], v56, v56                         // 000000004F44: D048002E 00027138
	v_add3_u32 v16, v56, v19, 1                                // 000000004F4C: D1FF0010 02062738
	v_cndmask_b32_e64 v4, v16, v18, s[46:47]                   // 000000004F54: D1000004 00BA2510
	v_cmp_u_f32_e64 s[46:47], v57, v57                         // 000000004F5C: D048002E 00027339
	v_add3_u32 v16, v57, v19, 1                                // 000000004F64: D1FF0010 02062739
	v_cndmask_b32_e64 v5, v16, v18, s[46:47]                   // 000000004F6C: D1000005 00BA2510
	v_perm_b32 v50, v5, v4, s52                                // 000000004F74: D1ED0032 00D20905
	v_cmp_u_f32_e64 s[46:47], v58, v58                         // 000000004F7C: D048002E 0002753A
	v_add3_u32 v16, v58, v19, 1                                // 000000004F84: D1FF0010 0206273A
	v_cndmask_b32_e64 v4, v16, v18, s[46:47]                   // 000000004F8C: D1000004 00BA2510
	v_cmp_u_f32_e64 s[46:47], v59, v59                         // 000000004F94: D048002E 0002773B
	v_add3_u32 v16, v59, v19, 1                                // 000000004F9C: D1FF0010 0206273B
	v_cndmask_b32_e64 v5, v16, v18, s[46:47]                   // 000000004FA4: D1000005 00BA2510
	v_perm_b32 v51, v5, v4, s52                                // 000000004FAC: D1ED0033 00D20905
	v_cmp_u_f32_e64 s[46:47], v60, v60                         // 000000004FB4: D048002E 0002793C
	v_add3_u32 v16, v60, v19, 1                                // 000000004FBC: D1FF0010 0206273C
	v_cndmask_b32_e64 v4, v16, v18, s[46:47]                   // 000000004FC4: D1000004 00BA2510
	v_cmp_u_f32_e64 s[46:47], v61, v61                         // 000000004FCC: D048002E 00027B3D
	v_add3_u32 v16, v61, v19, 1                                // 000000004FD4: D1FF0010 0206273D
	v_cndmask_b32_e64 v5, v16, v18, s[46:47]                   // 000000004FDC: D1000005 00BA2510
	v_perm_b32 v52, v5, v4, s52                                // 000000004FE4: D1ED0034 00D20905
	v_cmp_u_f32_e64 s[46:47], v62, v62                         // 000000004FEC: D048002E 00027D3E
	v_add3_u32 v16, v62, v19, 1                                // 000000004FF4: D1FF0010 0206273E
	v_cndmask_b32_e64 v4, v16, v18, s[46:47]                   // 000000004FFC: D1000004 00BA2510
	v_cmp_u_f32_e64 s[46:47], v63, v63                         // 000000005004: D048002E 00027F3F
	v_add3_u32 v16, v63, v19, 1                                // 00000000500C: D1FF0010 0206273F
	v_cndmask_b32_e64 v5, v16, v18, s[46:47]                   // 000000005014: D1000005 00BA2510
	v_perm_b32 v53, v5, v4, s52                                // 00000000501C: D1ED0035 00D20905
	v_cmp_u_f32_e64 s[46:47], v64, v64                         // 000000005024: D048002E 00028140
	v_add3_u32 v16, v64, v19, 1                                // 00000000502C: D1FF0010 02062740
	v_cndmask_b32_e64 v4, v16, v18, s[46:47]                   // 000000005034: D1000004 00BA2510
	v_cmp_u_f32_e64 s[46:47], v65, v65                         // 00000000503C: D048002E 00028341
	v_add3_u32 v16, v65, v19, 1                                // 000000005044: D1FF0010 02062741
	v_cndmask_b32_e64 v5, v16, v18, s[46:47]                   // 00000000504C: D1000005 00BA2510
	v_perm_b32 v54, v5, v4, s52                                // 000000005054: D1ED0036 00D20905
	v_cmp_u_f32_e64 s[46:47], v66, v66                         // 00000000505C: D048002E 00028542
	v_add3_u32 v16, v66, v19, 1                                // 000000005064: D1FF0010 02062742
	v_cndmask_b32_e64 v4, v16, v18, s[46:47]                   // 00000000506C: D1000004 00BA2510
	v_cmp_u_f32_e64 s[46:47], v67, v67                         // 000000005074: D048002E 00028743
	v_add3_u32 v16, v67, v19, 1                                // 00000000507C: D1FF0010 02062743
	v_cndmask_b32_e64 v5, v16, v18, s[46:47]                   // 000000005084: D1000005 00BA2510
	v_perm_b32 v55, v5, v4, s52                                // 00000000508C: D1ED0037 00D20905
	ds_write_b64 v20, v[44:45]                                 // 000000005094: D89A0000 00002C14
	ds_write_b64 v20, v[46:47] offset:2176                     // 00000000509C: D89A0880 00002E14
	ds_write_b64 v20, v[48:49] offset:4352                     // 0000000050A4: D89A1100 00003014
	ds_write_b64 v20, v[50:51] offset:6528                     // 0000000050AC: D89A1980 00003214
	ds_write_b64 v20, v[52:53] offset:8704                     // 0000000050B4: D89A2200 00003414
	ds_write_b64 v20, v[54:55] offset:10880                    // 0000000050BC: D89A2A80 00003614
	v_lshrrev_b32_e32 v4, 5, v0                                // 0000000050C4: 20080085
	v_xor_b32_e32 v5, 1, v4                                    // 0000000050C8: 2A0A0881
	s_mul_i32 s60, s65, 2                                      // 0000000050CC: 923C8241
	s_cmp_eq_u32 s88, 0                                        // 0000000050D0: BF068058
	s_cselect_b32 s61, 1, 4                                    // 0000000050D4: 853D8481
	s_mul_i32 s60, s61, s60                                    // 0000000050D8: 923C3C3D
	v_readlane_b32 s82, v3, 0                                  // 0000000050DC: D2890052 00010103
	s_lshr_b32 s61, s82, 24                                    // 0000000050E4: 8F3D9852
	s_and_b32 s82, s82, 0xffffff                               // 0000000050E8: 8652FF52 00FFFFFF
	s_mul_i32 s82, s82, s71                                    // 0000000050F0: 92524752
	s_mul_i32 s61, s60, s61                                    // 0000000050F4: 923D3D3C
	s_add_u32 s82, s82, s61                                    // 0000000050F8: 80523D52
	v_mul_lo_u32 v6, v5, s82                                   // 0000000050FC: D2850006 0000A505
	v_readlane_b32 s82, v3, 1                                  // 000000005104: D2890052 00010303
	s_lshr_b32 s61, s82, 24                                    // 00000000510C: 8F3D9852
	s_and_b32 s82, s82, 0xffffff                               // 000000005110: 8652FF52 00FFFFFF
	s_mul_i32 s82, s82, s71                                    // 000000005118: 92524752
	s_mul_i32 s61, s60, s61                                    // 00000000511C: 923D3D3C
	s_add_u32 s82, s82, s61                                    // 000000005120: 80523D52
	v_mul_lo_u32 v7, v4, s82                                   // 000000005124: D2850007 0000A504
	v_add_u32_e32 v35, v6, v7                                  // 00000000512C: 68460F06
	v_readlane_b32 s82, v3, 2                                  // 000000005130: D2890052 00010503
	s_lshr_b32 s61, s82, 24                                    // 000000005138: 8F3D9852
	s_and_b32 s82, s82, 0xffffff                               // 00000000513C: 8652FF52 00FFFFFF
	s_mul_i32 s82, s82, s71                                    // 000000005144: 92524752
	s_mul_i32 s61, s60, s61                                    // 000000005148: 923D3D3C
	s_add_u32 s82, s82, s61                                    // 00000000514C: 80523D52
	v_mul_lo_u32 v6, v5, s82                                   // 000000005150: D2850006 0000A505
	v_readlane_b32 s82, v3, 3                                  // 000000005158: D2890052 00010703
	s_lshr_b32 s61, s82, 24                                    // 000000005160: 8F3D9852
	s_and_b32 s82, s82, 0xffffff                               // 000000005164: 8652FF52 00FFFFFF
	s_mul_i32 s82, s82, s71                                    // 00000000516C: 92524752
	s_mul_i32 s61, s60, s61                                    // 000000005170: 923D3D3C
	s_add_u32 s82, s82, s61                                    // 000000005174: 80523D52
	v_mul_lo_u32 v7, v4, s82                                   // 000000005178: D2850007 0000A504
	v_add_u32_e32 v36, v6, v7                                  // 000000005180: 68480F06
	v_and_b32_e32 v4, 31, v0                                   // 000000005184: 2608009F
	v_lshrrev_b32_e32 v4, 1, v4                                // 000000005188: 20080881
	s_cmp_eq_u32 s88, 0                                        // 00000000518C: BF068058
	s_cselect_b32 s61, 2, 4                                    // 000000005190: 853D8482
	v_mul_lo_u32 v4, v4, s61                                   // 000000005194: D2850004 00007B04
	v_and_b32_e64 v5, v0, 1                                    // 00000000519C: D1130005 00010300
	v_add_u32_e32 v4, v4, v5                                   // 0000000051A4: 68080B04
	v_lshlrev_b32_e32 v4, 2, v4                                // 0000000051A8: 24080882
	v_add_u32_e32 v35, v35, v4                                 // 0000000051AC: 68460923
	v_add_u32_e32 v36, v36, v4                                 // 0000000051B0: 68480924
	s_waitcnt lgkmcnt(0)                                       // 0000000051B4: BF8CC07F
	s_barrier                                                  // 0000000051B8: BF8A0000
	ds_read_b32 v44, v21                                       // 0000000051BC: D86C0000 2C000015
	ds_read_b32 v45, v21 offset:64                             // 0000000051C4: D86C0040 2D000015
	ds_read_b32 v46, v21 offset:2176                           // 0000000051CC: D86C0880 2E000015
	ds_read_b32 v47, v21 offset:2240                           // 0000000051D4: D86C08C0 2F000015
	ds_read_b32 v48, v21 offset:4352                           // 0000000051DC: D86C1100 30000015
	ds_read_b32 v49, v21 offset:4416                           // 0000000051E4: D86C1140 31000015
	ds_read_b32 v50, v21 offset:6528                           // 0000000051EC: D86C1980 32000015
	ds_read_b32 v51, v21 offset:6592                           // 0000000051F4: D86C19C0 33000015
	ds_read_b32 v52, v21 offset:8704                           // 0000000051FC: D86C2200 34000015
	ds_read_b32 v53, v21 offset:8768                           // 000000005204: D86C2240 35000015
	ds_read_b32 v54, v21 offset:10880                          // 00000000520C: D86C2A80 36000015
	ds_read_b32 v55, v21 offset:10944                          // 000000005214: D86C2AC0 37000015
	s_waitcnt lgkmcnt(0)                                       // 00000000521C: BF8CC07F
	s_mov_b32 s36, -1                                          // 000000005220: BEA400C1
	s_mov_b32 s37, -1                                          // 000000005224: BEA500C1
	v_mov_b32_e32 v7, 0                                        // 000000005228: 7E0E0280
	s_or_b32 s9, s9, 0x40000                                   // 00000000522C: 8709FF09 00040000
	s_mov_b64 exec, s[36:37]                                   // 000000005234: BEFE0124
	v_mov_b32_e32 v6, v35                                      // 000000005238: 7E0C0323
	s_mov_b64 s[60:61], 0                                      // 00000000523C: BEBC0180
	v_readlane_b32 s82, v3, 0                                  // 000000005240: D2890052 00010103
	s_and_b32 s82, s82, 0xffffff                               // 000000005248: 8652FF52 00FFFFFF
	s_cmp_lt_u32 s82, s66                                      // 000000005250: BF0A4252
	s_cselect_b32 s20, s36, s60                                // 000000005254: 85143C24
	v_readlane_b32 s82, v3, 1                                  // 000000005258: D2890052 00010303
	s_and_b32 s82, s82, 0xffffff                               // 000000005260: 8652FF52 00FFFFFF
	s_cmp_lt_u32 s82, s66                                      // 000000005268: BF0A4252
	s_cselect_b32 s21, s36, s60                                // 00000000526C: 85153C24
	s_mov_b64 exec, s[20:21]                                   // 000000005270: BEFE0114
	buffer_store_dword v44, v6, s[8:11], 0 offen               // 000000005274: E0701000 80022C06
	buffer_store_dword v46, v6, s[8:11], 0 offen offset:128    // 00000000527C: E0701080 80022E06
	buffer_store_dword v48, v6, s[8:11], 0 offen offset:256    // 000000005284: E0701100 80023006
	buffer_store_dword v50, v6, s[8:11], 0 offen offset:384    // 00000000528C: E0701180 80023206
	buffer_store_dword v52, v6, s[8:11], 0 offen offset:512    // 000000005294: E0701200 80023406
	buffer_store_dword v54, v6, s[8:11], 0 offen offset:640    // 00000000529C: E0701280 80023606
	s_mov_b64 exec, s[36:37]                                   // 0000000052A4: BEFE0124
	v_mov_b32_e32 v6, v36                                      // 0000000052A8: 7E0C0324
	s_mov_b64 s[60:61], 0                                      // 0000000052AC: BEBC0180
	v_readlane_b32 s82, v3, 2                                  // 0000000052B0: D2890052 00010503
	s_and_b32 s82, s82, 0xffffff                               // 0000000052B8: 8652FF52 00FFFFFF
	s_cmp_lt_u32 s82, s66                                      // 0000000052C0: BF0A4252
	s_cselect_b32 s20, s36, s60                                // 0000000052C4: 85143C24
	v_readlane_b32 s82, v3, 3                                  // 0000000052C8: D2890052 00010703
	s_and_b32 s82, s82, 0xffffff                               // 0000000052D0: 8652FF52 00FFFFFF
	s_cmp_lt_u32 s82, s66                                      // 0000000052D8: BF0A4252
	s_cselect_b32 s21, s36, s60                                // 0000000052DC: 85153C24
	s_mov_b64 exec, s[20:21]                                   // 0000000052E0: BEFE0114
	buffer_store_dword v45, v6, s[8:11], 0 offen               // 0000000052E4: E0701000 80022D06
	buffer_store_dword v47, v6, s[8:11], 0 offen offset:128    // 0000000052EC: E0701080 80022F06
	buffer_store_dword v49, v6, s[8:11], 0 offen offset:256    // 0000000052F4: E0701100 80023106
	buffer_store_dword v51, v6, s[8:11], 0 offen offset:384    // 0000000052FC: E0701180 80023306
	buffer_store_dword v53, v6, s[8:11], 0 offen offset:512    // 000000005304: E0701200 80023506
	buffer_store_dword v55, v6, s[8:11], 0 offen offset:640    // 00000000530C: E0701280 80023706
	s_mov_b64 exec, s[36:37]                                   // 000000005314: BEFE0124
	s_branch label_154E                                        // 000000005318: BF820B84

000000000000531c <label_09C7>:
	ds_write_b64 v20, v[44:45]                                 // 00000000531C: D89A0000 00002C14
	ds_write_b64 v20, v[48:49] offset:2176                     // 000000005324: D89A0880 00003014
	ds_write_b64 v20, v[52:53] offset:4352                     // 00000000532C: D89A1100 00003414
	ds_write_b64 v20, v[56:57] offset:6528                     // 000000005334: D89A1980 00003814
	ds_write_b64 v20, v[60:61] offset:8704                     // 00000000533C: D89A2200 00003C14
	ds_write_b64 v20, v[64:65] offset:10880                    // 000000005344: D89A2A80 00004014
	v_lshrrev_b32_e32 v4, 5, v0                                // 00000000534C: 20080085
	v_xor_b32_e32 v5, 1, v4                                    // 000000005350: 2A0A0881
	s_mul_i32 s60, s65, 2                                      // 000000005354: 923C8241
	s_cmp_eq_u32 s88, 0                                        // 000000005358: BF068058
	s_cselect_b32 s61, 1, 4                                    // 00000000535C: 853D8481
	s_mul_i32 s60, s61, s60                                    // 000000005360: 923C3C3D
	v_readlane_b32 s82, v3, 0                                  // 000000005364: D2890052 00010103
	s_lshr_b32 s61, s82, 24                                    // 00000000536C: 8F3D9852
	s_and_b32 s82, s82, 0xffffff                               // 000000005370: 8652FF52 00FFFFFF
	s_mul_i32 s82, s82, s71                                    // 000000005378: 92524752
	s_mul_i32 s61, s60, s61                                    // 00000000537C: 923D3D3C
	s_add_u32 s82, s82, s61                                    // 000000005380: 80523D52
	v_mul_lo_u32 v6, v5, s82                                   // 000000005384: D2850006 0000A505
	v_readlane_b32 s82, v3, 1                                  // 00000000538C: D2890052 00010303
	s_lshr_b32 s61, s82, 24                                    // 000000005394: 8F3D9852
	s_and_b32 s82, s82, 0xffffff                               // 000000005398: 8652FF52 00FFFFFF
	s_mul_i32 s82, s82, s71                                    // 0000000053A0: 92524752
	s_mul_i32 s61, s60, s61                                    // 0000000053A4: 923D3D3C
	s_add_u32 s82, s82, s61                                    // 0000000053A8: 80523D52
	v_mul_lo_u32 v7, v4, s82                                   // 0000000053AC: D2850007 0000A504
	v_add_u32_e32 v35, v6, v7                                  // 0000000053B4: 68460F06
	v_readlane_b32 s82, v3, 2                                  // 0000000053B8: D2890052 00010503
	s_lshr_b32 s61, s82, 24                                    // 0000000053C0: 8F3D9852
	s_and_b32 s82, s82, 0xffffff                               // 0000000053C4: 8652FF52 00FFFFFF
	s_mul_i32 s82, s82, s71                                    // 0000000053CC: 92524752
	s_mul_i32 s61, s60, s61                                    // 0000000053D0: 923D3D3C
	s_add_u32 s82, s82, s61                                    // 0000000053D4: 80523D52
	v_mul_lo_u32 v6, v5, s82                                   // 0000000053D8: D2850006 0000A505
	v_readlane_b32 s82, v3, 3                                  // 0000000053E0: D2890052 00010703
	s_lshr_b32 s61, s82, 24                                    // 0000000053E8: 8F3D9852
	s_and_b32 s82, s82, 0xffffff                               // 0000000053EC: 8652FF52 00FFFFFF
	s_mul_i32 s82, s82, s71                                    // 0000000053F4: 92524752
	s_mul_i32 s61, s60, s61                                    // 0000000053F8: 923D3D3C
	s_add_u32 s82, s82, s61                                    // 0000000053FC: 80523D52
	v_mul_lo_u32 v7, v4, s82                                   // 000000005400: D2850007 0000A504
	v_add_u32_e32 v36, v6, v7                                  // 000000005408: 68480F06
	v_and_b32_e32 v4, 31, v0                                   // 00000000540C: 2608009F
	v_lshrrev_b32_e32 v4, 1, v4                                // 000000005410: 20080881
	s_cmp_eq_u32 s88, 0                                        // 000000005414: BF068058
	s_cselect_b32 s61, 2, 4                                    // 000000005418: 853D8482
	v_mul_lo_u32 v4, v4, s61                                   // 00000000541C: D2850004 00007B04
	v_and_b32_e64 v5, v0, 1                                    // 000000005424: D1130005 00010300
	v_add_u32_e32 v4, v4, v5                                   // 00000000542C: 68080B04
	v_lshlrev_b32_e32 v4, 2, v4                                // 000000005430: 24080882
	v_add_u32_e32 v35, v35, v4                                 // 000000005434: 68460923
	v_add_u32_e32 v36, v36, v4                                 // 000000005438: 68480924
	s_waitcnt lgkmcnt(0)                                       // 00000000543C: BF8CC07F
	s_barrier                                                  // 000000005440: BF8A0000
	ds_read_b32 v44, v21                                       // 000000005444: D86C0000 2C000015
	ds_read_b32 v45, v21 offset:64                             // 00000000544C: D86C0040 2D000015
	ds_read_b32 v48, v21 offset:2176                           // 000000005454: D86C0880 30000015
	ds_read_b32 v49, v21 offset:2240                           // 00000000545C: D86C08C0 31000015
	ds_read_b32 v52, v21 offset:4352                           // 000000005464: D86C1100 34000015
	ds_read_b32 v53, v21 offset:4416                           // 00000000546C: D86C1140 35000015
	ds_read_b32 v56, v21 offset:6528                           // 000000005474: D86C1980 38000015
	ds_read_b32 v57, v21 offset:6592                           // 00000000547C: D86C19C0 39000015
	ds_read_b32 v60, v21 offset:8704                           // 000000005484: D86C2200 3C000015
	ds_read_b32 v61, v21 offset:8768                           // 00000000548C: D86C2240 3D000015
	ds_read_b32 v64, v21 offset:10880                          // 000000005494: D86C2A80 40000015
	ds_read_b32 v65, v21 offset:10944                          // 00000000549C: D86C2AC0 41000015
	s_waitcnt lgkmcnt(0)                                       // 0000000054A4: BF8CC07F
	s_mov_b32 s36, -1                                          // 0000000054A8: BEA400C1
	s_mov_b32 s37, -1                                          // 0000000054AC: BEA500C1
	v_mov_b32_e32 v7, 0                                        // 0000000054B0: 7E0E0280
	s_mov_b64 exec, s[36:37]                                   // 0000000054B4: BEFE0124
	v_mov_b32_e32 v6, v35                                      // 0000000054B8: 7E0C0323
	s_mov_b64 s[60:61], 0                                      // 0000000054BC: BEBC0180
	v_readlane_b32 s82, v3, 0                                  // 0000000054C0: D2890052 00010103
	s_and_b32 s82, s82, 0xffffff                               // 0000000054C8: 8652FF52 00FFFFFF
	s_cmp_lt_u32 s82, s66                                      // 0000000054D0: BF0A4252
	s_cselect_b32 s20, s36, s60                                // 0000000054D4: 85143C24
	v_readlane_b32 s82, v3, 1                                  // 0000000054D8: D2890052 00010303
	s_and_b32 s82, s82, 0xffffff                               // 0000000054E0: 8652FF52 00FFFFFF
	s_cmp_lt_u32 s82, s66                                      // 0000000054E8: BF0A4252
	s_cselect_b32 s21, s36, s60                                // 0000000054EC: 85153C24
	s_mov_b64 exec, s[20:21]                                   // 0000000054F0: BEFE0114
	global_atomic_add_f32 v6, v44, s[8:9]                      // 0000000054F4: DD348000 00082C06
	global_atomic_add_f32 v6, v48, s[8:9] offset:256           // 0000000054FC: DD348100 00083006
	global_atomic_add_f32 v6, v52, s[8:9] offset:512           // 000000005504: DD348200 00083406
	global_atomic_add_f32 v6, v56, s[8:9] offset:768           // 00000000550C: DD348300 00083806
	global_atomic_add_f32 v6, v60, s[8:9] offset:1024          // 000000005514: DD348400 00083C06
	global_atomic_add_f32 v6, v64, s[8:9] offset:1280          // 00000000551C: DD348500 00084006
	s_mov_b64 exec, s[36:37]                                   // 000000005524: BEFE0124
	v_mov_b32_e32 v6, v36                                      // 000000005528: 7E0C0324
	s_mov_b64 s[60:61], 0                                      // 00000000552C: BEBC0180
	v_readlane_b32 s82, v3, 2                                  // 000000005530: D2890052 00010503
	s_and_b32 s82, s82, 0xffffff                               // 000000005538: 8652FF52 00FFFFFF
	s_cmp_lt_u32 s82, s66                                      // 000000005540: BF0A4252
	s_cselect_b32 s20, s36, s60                                // 000000005544: 85143C24
	v_readlane_b32 s82, v3, 3                                  // 000000005548: D2890052 00010703
	s_and_b32 s82, s82, 0xffffff                               // 000000005550: 8652FF52 00FFFFFF
	s_cmp_lt_u32 s82, s66                                      // 000000005558: BF0A4252
	s_cselect_b32 s21, s36, s60                                // 00000000555C: 85153C24
	s_mov_b64 exec, s[20:21]                                   // 000000005560: BEFE0114
	global_atomic_add_f32 v6, v45, s[8:9]                      // 000000005564: DD348000 00082D06
	global_atomic_add_f32 v6, v49, s[8:9] offset:256           // 00000000556C: DD348100 00083106
	global_atomic_add_f32 v6, v53, s[8:9] offset:512           // 000000005574: DD348200 00083506
	global_atomic_add_f32 v6, v57, s[8:9] offset:768           // 00000000557C: DD348300 00083906
	global_atomic_add_f32 v6, v61, s[8:9] offset:1024          // 000000005584: DD348400 00083D06
	global_atomic_add_f32 v6, v65, s[8:9] offset:1280          // 00000000558C: DD348500 00084106
	s_mov_b64 exec, s[36:37]                                   // 000000005594: BEFE0124
	ds_write_b64 v20, v[46:47]                                 // 000000005598: D89A0000 00002E14
	ds_write_b64 v20, v[50:51] offset:2176                     // 0000000055A0: D89A0880 00003214
	ds_write_b64 v20, v[54:55] offset:4352                     // 0000000055A8: D89A1100 00003614
	ds_write_b64 v20, v[58:59] offset:6528                     // 0000000055B0: D89A1980 00003A14
	ds_write_b64 v20, v[62:63] offset:8704                     // 0000000055B8: D89A2200 00003E14
	ds_write_b64 v20, v[66:67] offset:10880                    // 0000000055C0: D89A2A80 00004214
	s_waitcnt lgkmcnt(0)                                       // 0000000055C8: BF8CC07F
	s_barrier                                                  // 0000000055CC: BF8A0000
	ds_read_b32 v46, v21                                       // 0000000055D0: D86C0000 2E000015
	ds_read_b32 v47, v21 offset:64                             // 0000000055D8: D86C0040 2F000015
	ds_read_b32 v50, v21 offset:2176                           // 0000000055E0: D86C0880 32000015
	ds_read_b32 v51, v21 offset:2240                           // 0000000055E8: D86C08C0 33000015
	ds_read_b32 v54, v21 offset:4352                           // 0000000055F0: D86C1100 36000015
	ds_read_b32 v55, v21 offset:4416                           // 0000000055F8: D86C1140 37000015
	ds_read_b32 v58, v21 offset:6528                           // 000000005600: D86C1980 3A000015
	ds_read_b32 v59, v21 offset:6592                           // 000000005608: D86C19C0 3B000015
	ds_read_b32 v62, v21 offset:8704                           // 000000005610: D86C2200 3E000015
	ds_read_b32 v63, v21 offset:8768                           // 000000005618: D86C2240 3F000015
	ds_read_b32 v66, v21 offset:10880                          // 000000005620: D86C2A80 42000015
	ds_read_b32 v67, v21 offset:10944                          // 000000005628: D86C2AC0 43000015
	s_waitcnt lgkmcnt(0)                                       // 000000005630: BF8CC07F
	v_mov_b32_e32 v7, 0                                        // 000000005634: 7E0E0280
	s_mov_b64 exec, s[36:37]                                   // 000000005638: BEFE0124
	v_mov_b32_e32 v6, v35                                      // 00000000563C: 7E0C0323
	s_mov_b64 s[60:61], 0                                      // 000000005640: BEBC0180
	v_readlane_b32 s82, v3, 0                                  // 000000005644: D2890052 00010103
	s_and_b32 s82, s82, 0xffffff                               // 00000000564C: 8652FF52 00FFFFFF
	s_cmp_lt_u32 s82, s66                                      // 000000005654: BF0A4252
	s_cselect_b32 s20, s36, s60                                // 000000005658: 85143C24
	v_readlane_b32 s82, v3, 1                                  // 00000000565C: D2890052 00010303
	s_and_b32 s82, s82, 0xffffff                               // 000000005664: 8652FF52 00FFFFFF
	s_cmp_lt_u32 s82, s66                                      // 00000000566C: BF0A4252
	s_cselect_b32 s21, s36, s60                                // 000000005670: 85153C24
	s_mov_b64 exec, s[20:21]                                   // 000000005674: BEFE0114
	global_atomic_add_f32 v6, v46, s[8:9] offset:8             // 000000005678: DD348008 00082E06
	global_atomic_add_f32 v6, v50, s[8:9] offset:264           // 000000005680: DD348108 00083206
	global_atomic_add_f32 v6, v54, s[8:9] offset:520           // 000000005688: DD348208 00083606
	global_atomic_add_f32 v6, v58, s[8:9] offset:776           // 000000005690: DD348308 00083A06
	global_atomic_add_f32 v6, v62, s[8:9] offset:1032          // 000000005698: DD348408 00083E06
	global_atomic_add_f32 v6, v66, s[8:9] offset:1288          // 0000000056A0: DD348508 00084206
	s_mov_b64 exec, s[36:37]                                   // 0000000056A8: BEFE0124
	v_mov_b32_e32 v6, v36                                      // 0000000056AC: 7E0C0324
	s_mov_b64 s[60:61], 0                                      // 0000000056B0: BEBC0180
	v_readlane_b32 s82, v3, 2                                  // 0000000056B4: D2890052 00010503
	s_and_b32 s82, s82, 0xffffff                               // 0000000056BC: 8652FF52 00FFFFFF
	s_cmp_lt_u32 s82, s66                                      // 0000000056C4: BF0A4252
	s_cselect_b32 s20, s36, s60                                // 0000000056C8: 85143C24
	v_readlane_b32 s82, v3, 3                                  // 0000000056CC: D2890052 00010703
	s_and_b32 s82, s82, 0xffffff                               // 0000000056D4: 8652FF52 00FFFFFF
	s_cmp_lt_u32 s82, s66                                      // 0000000056DC: BF0A4252
	s_cselect_b32 s21, s36, s60                                // 0000000056E0: 85153C24
	s_mov_b64 exec, s[20:21]                                   // 0000000056E4: BEFE0114
	global_atomic_add_f32 v6, v47, s[8:9] offset:8             // 0000000056E8: DD348008 00082F06
	global_atomic_add_f32 v6, v51, s[8:9] offset:264           // 0000000056F0: DD348108 00083306
	global_atomic_add_f32 v6, v55, s[8:9] offset:520           // 0000000056F8: DD348208 00083706
	global_atomic_add_f32 v6, v59, s[8:9] offset:776           // 000000005700: DD348308 00083B06
	global_atomic_add_f32 v6, v63, s[8:9] offset:1032          // 000000005708: DD348408 00083F06
	global_atomic_add_f32 v6, v67, s[8:9] offset:1288          // 000000005710: DD348508 00084306
	s_mov_b64 exec, s[36:37]                                   // 000000005718: BEFE0124
	ds_write_b64 v20, v[68:69]                                 // 00000000571C: D89A0000 00004414
	ds_write_b64 v20, v[72:73] offset:2176                     // 000000005724: D89A0880 00004814
	ds_write_b64 v20, v[76:77] offset:4352                     // 00000000572C: D89A1100 00004C14
	ds_write_b64 v20, v[80:81] offset:6528                     // 000000005734: D89A1980 00005014
	ds_write_b64 v20, v[84:85] offset:8704                     // 00000000573C: D89A2200 00005414
	ds_write_b64 v20, v[88:89] offset:10880                    // 000000005744: D89A2A80 00005814
	s_waitcnt lgkmcnt(0)                                       // 00000000574C: BF8CC07F
	s_barrier                                                  // 000000005750: BF8A0000
	ds_read_b32 v68, v21                                       // 000000005754: D86C0000 44000015
	ds_read_b32 v69, v21 offset:64                             // 00000000575C: D86C0040 45000015
	ds_read_b32 v72, v21 offset:2176                           // 000000005764: D86C0880 48000015
	ds_read_b32 v73, v21 offset:2240                           // 00000000576C: D86C08C0 49000015
	ds_read_b32 v76, v21 offset:4352                           // 000000005774: D86C1100 4C000015
	ds_read_b32 v77, v21 offset:4416                           // 00000000577C: D86C1140 4D000015
	ds_read_b32 v80, v21 offset:6528                           // 000000005784: D86C1980 50000015
	ds_read_b32 v81, v21 offset:6592                           // 00000000578C: D86C19C0 51000015
	ds_read_b32 v84, v21 offset:8704                           // 000000005794: D86C2200 54000015
	ds_read_b32 v85, v21 offset:8768                           // 00000000579C: D86C2240 55000015
	ds_read_b32 v88, v21 offset:10880                          // 0000000057A4: D86C2A80 58000015
	ds_read_b32 v89, v21 offset:10944                          // 0000000057AC: D86C2AC0 59000015
	s_mul_i32 s60, s65, 4                                      // 0000000057B4: 923C8441
	s_add_u32 s8, s60, s8                                      // 0000000057B8: 8008083C
	s_addc_u32 s9, 0, s9                                       // 0000000057BC: 82090980
	s_waitcnt lgkmcnt(0)                                       // 0000000057C0: BF8CC07F
	v_mov_b32_e32 v7, 0                                        // 0000000057C4: 7E0E0280
	s_mov_b64 exec, s[36:37]                                   // 0000000057C8: BEFE0124
	v_mov_b32_e32 v6, v35                                      // 0000000057CC: 7E0C0323
	s_mov_b64 s[60:61], 0                                      // 0000000057D0: BEBC0180
	v_readlane_b32 s82, v3, 0                                  // 0000000057D4: D2890052 00010103
	s_and_b32 s82, s82, 0xffffff                               // 0000000057DC: 8652FF52 00FFFFFF
	s_cmp_lt_u32 s82, s66                                      // 0000000057E4: BF0A4252
	s_cselect_b32 s20, s36, s60                                // 0000000057E8: 85143C24
	v_readlane_b32 s82, v3, 1                                  // 0000000057EC: D2890052 00010303
	s_and_b32 s82, s82, 0xffffff                               // 0000000057F4: 8652FF52 00FFFFFF
	s_cmp_lt_u32 s82, s66                                      // 0000000057FC: BF0A4252
	s_cselect_b32 s21, s36, s60                                // 000000005800: 85153C24
	s_mov_b64 exec, s[20:21]                                   // 000000005804: BEFE0114
	global_atomic_add_f32 v6, v68, s[8:9]                      // 000000005808: DD348000 00084406
	global_atomic_add_f32 v6, v72, s[8:9] offset:256           // 000000005810: DD348100 00084806
	global_atomic_add_f32 v6, v76, s[8:9] offset:512           // 000000005818: DD348200 00084C06
	global_atomic_add_f32 v6, v80, s[8:9] offset:768           // 000000005820: DD348300 00085006
	global_atomic_add_f32 v6, v84, s[8:9] offset:1024          // 000000005828: DD348400 00085406
	global_atomic_add_f32 v6, v88, s[8:9] offset:1280          // 000000005830: DD348500 00085806
	s_mov_b64 exec, s[36:37]                                   // 000000005838: BEFE0124
	v_mov_b32_e32 v6, v36                                      // 00000000583C: 7E0C0324
	s_mov_b64 s[60:61], 0                                      // 000000005840: BEBC0180
	v_readlane_b32 s82, v3, 2                                  // 000000005844: D2890052 00010503
	s_and_b32 s82, s82, 0xffffff                               // 00000000584C: 8652FF52 00FFFFFF
	s_cmp_lt_u32 s82, s66                                      // 000000005854: BF0A4252
	s_cselect_b32 s20, s36, s60                                // 000000005858: 85143C24
	v_readlane_b32 s82, v3, 3                                  // 00000000585C: D2890052 00010703
	s_and_b32 s82, s82, 0xffffff                               // 000000005864: 8652FF52 00FFFFFF
	s_cmp_lt_u32 s82, s66                                      // 00000000586C: BF0A4252
	s_cselect_b32 s21, s36, s60                                // 000000005870: 85153C24
	s_mov_b64 exec, s[20:21]                                   // 000000005874: BEFE0114
	global_atomic_add_f32 v6, v69, s[8:9]                      // 000000005878: DD348000 00084506
	global_atomic_add_f32 v6, v73, s[8:9] offset:256           // 000000005880: DD348100 00084906
	global_atomic_add_f32 v6, v77, s[8:9] offset:512           // 000000005888: DD348200 00084D06
	global_atomic_add_f32 v6, v81, s[8:9] offset:768           // 000000005890: DD348300 00085106
	global_atomic_add_f32 v6, v85, s[8:9] offset:1024          // 000000005898: DD348400 00085506
	global_atomic_add_f32 v6, v89, s[8:9] offset:1280          // 0000000058A0: DD348500 00085906
	s_mov_b64 exec, s[36:37]                                   // 0000000058A8: BEFE0124
	ds_write_b64 v20, v[70:71]                                 // 0000000058AC: D89A0000 00004614
	ds_write_b64 v20, v[74:75] offset:2176                     // 0000000058B4: D89A0880 00004A14
	ds_write_b64 v20, v[78:79] offset:4352                     // 0000000058BC: D89A1100 00004E14
	ds_write_b64 v20, v[82:83] offset:6528                     // 0000000058C4: D89A1980 00005214
	ds_write_b64 v20, v[86:87] offset:8704                     // 0000000058CC: D89A2200 00005614
	ds_write_b64 v20, v[90:91] offset:10880                    // 0000000058D4: D89A2A80 00005A14
	s_waitcnt lgkmcnt(0)                                       // 0000000058DC: BF8CC07F
	s_barrier                                                  // 0000000058E0: BF8A0000
	ds_read_b32 v70, v21                                       // 0000000058E4: D86C0000 46000015
	ds_read_b32 v71, v21 offset:64                             // 0000000058EC: D86C0040 47000015
	ds_read_b32 v74, v21 offset:2176                           // 0000000058F4: D86C0880 4A000015
	ds_read_b32 v75, v21 offset:2240                           // 0000000058FC: D86C08C0 4B000015
	ds_read_b32 v78, v21 offset:4352                           // 000000005904: D86C1100 4E000015
	ds_read_b32 v79, v21 offset:4416                           // 00000000590C: D86C1140 4F000015
	ds_read_b32 v82, v21 offset:6528                           // 000000005914: D86C1980 52000015
	ds_read_b32 v83, v21 offset:6592                           // 00000000591C: D86C19C0 53000015
	ds_read_b32 v86, v21 offset:8704                           // 000000005924: D86C2200 56000015
	ds_read_b32 v87, v21 offset:8768                           // 00000000592C: D86C2240 57000015
	ds_read_b32 v90, v21 offset:10880                          // 000000005934: D86C2A80 5A000015
	ds_read_b32 v91, v21 offset:10944                          // 00000000593C: D86C2AC0 5B000015
	s_waitcnt lgkmcnt(0)                                       // 000000005944: BF8CC07F
	v_mov_b32_e32 v7, 0                                        // 000000005948: 7E0E0280
	s_mov_b64 exec, s[36:37]                                   // 00000000594C: BEFE0124
	v_mov_b32_e32 v6, v35                                      // 000000005950: 7E0C0323
	s_mov_b64 s[60:61], 0                                      // 000000005954: BEBC0180
	v_readlane_b32 s82, v3, 0                                  // 000000005958: D2890052 00010103
	s_and_b32 s82, s82, 0xffffff                               // 000000005960: 8652FF52 00FFFFFF
	s_cmp_lt_u32 s82, s66                                      // 000000005968: BF0A4252
	s_cselect_b32 s20, s36, s60                                // 00000000596C: 85143C24
	v_readlane_b32 s82, v3, 1                                  // 000000005970: D2890052 00010303
	s_and_b32 s82, s82, 0xffffff                               // 000000005978: 8652FF52 00FFFFFF
	s_cmp_lt_u32 s82, s66                                      // 000000005980: BF0A4252
	s_cselect_b32 s21, s36, s60                                // 000000005984: 85153C24
	s_mov_b64 exec, s[20:21]                                   // 000000005988: BEFE0114
	global_atomic_add_f32 v6, v70, s[8:9] offset:8             // 00000000598C: DD348008 00084606
	global_atomic_add_f32 v6, v74, s[8:9] offset:264           // 000000005994: DD348108 00084A06
	global_atomic_add_f32 v6, v78, s[8:9] offset:520           // 00000000599C: DD348208 00084E06
	global_atomic_add_f32 v6, v82, s[8:9] offset:776           // 0000000059A4: DD348308 00085206
	global_atomic_add_f32 v6, v86, s[8:9] offset:1032          // 0000000059AC: DD348408 00085606
	global_atomic_add_f32 v6, v90, s[8:9] offset:1288          // 0000000059B4: DD348508 00085A06
	s_mov_b64 exec, s[36:37]                                   // 0000000059BC: BEFE0124
	v_mov_b32_e32 v6, v36                                      // 0000000059C0: 7E0C0324
	s_mov_b64 s[60:61], 0                                      // 0000000059C4: BEBC0180
	v_readlane_b32 s82, v3, 2                                  // 0000000059C8: D2890052 00010503
	s_and_b32 s82, s82, 0xffffff                               // 0000000059D0: 8652FF52 00FFFFFF
	s_cmp_lt_u32 s82, s66                                      // 0000000059D8: BF0A4252
	s_cselect_b32 s20, s36, s60                                // 0000000059DC: 85143C24
	v_readlane_b32 s82, v3, 3                                  // 0000000059E0: D2890052 00010703
	s_and_b32 s82, s82, 0xffffff                               // 0000000059E8: 8652FF52 00FFFFFF
	s_cmp_lt_u32 s82, s66                                      // 0000000059F0: BF0A4252
	s_cselect_b32 s21, s36, s60                                // 0000000059F4: 85153C24
	s_mov_b64 exec, s[20:21]                                   // 0000000059F8: BEFE0114
	global_atomic_add_f32 v6, v71, s[8:9] offset:8             // 0000000059FC: DD348008 00084706
	global_atomic_add_f32 v6, v75, s[8:9] offset:264           // 000000005A04: DD348108 00084B06
	global_atomic_add_f32 v6, v79, s[8:9] offset:520           // 000000005A0C: DD348208 00084F06
	global_atomic_add_f32 v6, v83, s[8:9] offset:776           // 000000005A14: DD348308 00085306
	global_atomic_add_f32 v6, v87, s[8:9] offset:1032          // 000000005A1C: DD348408 00085706
	global_atomic_add_f32 v6, v91, s[8:9] offset:1288          // 000000005A24: DD348508 00085B06
	s_mov_b64 exec, s[36:37]                                   // 000000005A2C: BEFE0124
	s_branch label_154E                                        // 000000005A30: BF8209BE

0000000000005a34 <label_0B90>:
	s_waitcnt vmcnt(14) lgkmcnt(0)                             // 000000005A34: BF8C007E
	v_mfma_i32_16x16x32_i8 v[44:47], a[16:17], a[0:1], v[44:47]// 000000005A38: D3D7002C 1CB20110
	buffer_load_dwordx4 a[112:115], v37, s[24:27], 0 offen     // 000000005A40: E05C1000 80867025
	v_mfma_i32_16x16x32_i8 v[44:47], a[18:19], a[2:3], v[44:47]// 000000005A48: D3D7002C 1CB20512
	v_mfma_i32_16x16x32_i8 v[44:47], a[20:21], a[4:5], v[44:47]// 000000005A50: D3D7002C 1CB20914
	v_mfma_i32_16x16x32_i8 v[44:47], a[22:23], a[6:7], v[44:47]// 000000005A58: D3D7002C 1CB20D16
	v_mfma_i32_16x16x32_i8 v[48:51], a[24:25], a[0:1], v[48:51]// 000000005A60: D3D70030 1CC20118
	buffer_load_dwordx4 a[116:119], v37, s[24:27], 0 offen offset:1024// 000000005A68: E05C1400 80867425
	v_mfma_i32_16x16x32_i8 v[48:51], a[26:27], a[2:3], v[48:51]// 000000005A70: D3D70030 1CC2051A
	v_mfma_i32_16x16x32_i8 v[48:51], a[28:29], a[4:5], v[48:51]// 000000005A78: D3D70030 1CC2091C
	v_mfma_i32_16x16x32_i8 v[48:51], a[30:31], a[6:7], v[48:51]// 000000005A80: D3D70030 1CC20D1E
	v_mfma_i32_16x16x32_i8 v[52:55], a[32:33], a[0:1], v[52:55]// 000000005A88: D3D70034 1CD20120
	buffer_load_dwordx4 a[120:123], v38, s[24:27], 0 offen     // 000000005A90: E05C1000 80867826
	v_mfma_i32_16x16x32_i8 v[52:55], a[34:35], a[2:3], v[52:55]// 000000005A98: D3D70034 1CD20522
	v_mfma_i32_16x16x32_i8 v[52:55], a[36:37], a[4:5], v[52:55]// 000000005AA0: D3D70034 1CD20924
	v_mfma_i32_16x16x32_i8 v[52:55], a[38:39], a[6:7], v[52:55]// 000000005AA8: D3D70034 1CD20D26
	v_mfma_i32_16x16x32_i8 v[56:59], a[40:41], a[0:1], v[56:59]// 000000005AB0: D3D70038 1CE20128
	buffer_load_dwordx4 a[124:127], v38, s[24:27], 0 offen offset:1024// 000000005AB8: E05C1400 80867C26
	v_mfma_i32_16x16x32_i8 v[56:59], a[42:43], a[2:3], v[56:59]// 000000005AC0: D3D70038 1CE2052A
	v_mfma_i32_16x16x32_i8 v[56:59], a[44:45], a[4:5], v[56:59]// 000000005AC8: D3D70038 1CE2092C
	v_mfma_i32_16x16x32_i8 v[56:59], a[46:47], a[6:7], v[56:59]// 000000005AD0: D3D70038 1CE20D2E
	v_mfma_i32_16x16x32_i8 v[60:63], a[48:49], a[0:1], v[60:63]// 000000005AD8: D3D7003C 1CF20130
	buffer_load_dwordx4 a[128:131], v39, s[24:27], 0 offen     // 000000005AE0: E05C1000 80868027
	v_mfma_i32_16x16x32_i8 v[60:63], a[50:51], a[2:3], v[60:63]// 000000005AE8: D3D7003C 1CF20532
	v_mfma_i32_16x16x32_i8 v[60:63], a[52:53], a[4:5], v[60:63]// 000000005AF0: D3D7003C 1CF20934
	v_mfma_i32_16x16x32_i8 v[60:63], a[54:55], a[6:7], v[60:63]// 000000005AF8: D3D7003C 1CF20D36
	v_mfma_i32_16x16x32_i8 v[64:67], a[56:57], a[0:1], v[64:67]// 000000005B00: D3D70040 1D020138
	buffer_load_dwordx4 a[132:135], v39, s[24:27], 0 offen offset:1024// 000000005B08: E05C1400 80868427
	v_mfma_i32_16x16x32_i8 v[64:67], a[58:59], a[2:3], v[64:67]// 000000005B10: D3D70040 1D02053A
	v_mfma_i32_16x16x32_i8 v[64:67], a[60:61], a[4:5], v[64:67]// 000000005B18: D3D70040 1D02093C
	v_mfma_i32_16x16x32_i8 v[64:67], a[62:63], a[6:7], v[64:67]// 000000005B20: D3D70040 1D020D3E
	buffer_load_dwordx4 a[136:139], v40, s[24:27], 0 offen     // 000000005B28: E05C1000 80868828
	buffer_load_dwordx4 a[140:143], v40, s[24:27], 0 offen offset:1024// 000000005B30: E05C1400 80868C28
	buffer_load_dwordx4 a[144:147], v41, s[24:27], 0 offen     // 000000005B38: E05C1000 80869029
	buffer_load_dwordx4 a[148:151], v41, s[24:27], 0 offen offset:1024// 000000005B40: E05C1400 80869429
	buffer_load_dwordx4 a[152:155], v42, s[24:27], 0 offen     // 000000005B48: E05C1000 8086982A
	buffer_load_dwordx4 a[156:159], v42, s[24:27], 0 offen offset:1024// 000000005B50: E05C1400 80869C2A
	buffer_load_dword v35, s[20:23], 0 offen lds               // 000000005B58: E0511000 80050023
	s_add_u32 m0, 0x100, s50                                   // 000000005B60: 807C32FF 00000100
	buffer_load_dword v36, s[20:23], 0 offen lds               // 000000005B68: E0511000 80050024
	s_add_u32 m0, 0, s48                                       // 000000005B70: 807C3080
	s_waitcnt vmcnt(14)                                        // 000000005B74: BF8C0F7E
	s_barrier                                                  // 000000005B78: BF8A0000
	v_mfma_i32_16x16x32_i8 v[68:71], a[64:65], a[0:1], v[68:71]// 000000005B7C: D3D70044 1D120140
	buffer_load_dwordx4 a[16:19], v37, s[84:87], 0 offen       // 000000005B84: E05C1000 80951025
	v_mfma_i32_16x16x32_i8 v[68:71], a[66:67], a[2:3], v[68:71]// 000000005B8C: D3D70044 1D120542
	v_mfma_i32_16x16x32_i8 v[68:71], a[68:69], a[4:5], v[68:71]// 000000005B94: D3D70044 1D120944
	ds_read_b128 a[8:11], v2 offset:2176                       // 000000005B9C: DBFE0880 08000002
	ds_read_b128 a[12:15], v2 offset:2240                      // 000000005BA4: DBFE08C0 0C000002
	v_mfma_i32_16x16x32_i8 v[68:71], a[70:71], a[6:7], v[68:71]// 000000005BAC: D3D70044 1D120D46
	v_mfma_i32_16x16x32_i8 v[72:75], a[72:73], a[0:1], v[72:75]// 000000005BB4: D3D70048 1D220148
	buffer_load_dwordx4 a[20:23], v37, s[84:87], 0 offen offset:1024// 000000005BBC: E05C1400 80951425
	v_mfma_i32_16x16x32_i8 v[72:75], a[74:75], a[2:3], v[72:75]// 000000005BC4: D3D70048 1D22054A
	v_mfma_i32_16x16x32_i8 v[72:75], a[76:77], a[4:5], v[72:75]// 000000005BCC: D3D70048 1D22094C
	v_mfma_i32_16x16x32_i8 v[72:75], a[78:79], a[6:7], v[72:75]// 000000005BD4: D3D70048 1D220D4E
	v_mfma_i32_16x16x32_i8 v[76:79], a[80:81], a[0:1], v[76:79]// 000000005BDC: D3D7004C 1D320150
	buffer_load_dwordx4 a[24:27], v38, s[84:87], 0 offen       // 000000005BE4: E05C1000 80951826
	v_mfma_i32_16x16x32_i8 v[76:79], a[82:83], a[2:3], v[76:79]// 000000005BEC: D3D7004C 1D320552
	v_mfma_i32_16x16x32_i8 v[76:79], a[84:85], a[4:5], v[76:79]// 000000005BF4: D3D7004C 1D320954
	v_mfma_i32_16x16x32_i8 v[76:79], a[86:87], a[6:7], v[76:79]// 000000005BFC: D3D7004C 1D320D56
	v_mfma_i32_16x16x32_i8 v[80:83], a[88:89], a[0:1], v[80:83]// 000000005C04: D3D70050 1D420158
	buffer_load_dwordx4 a[28:31], v38, s[84:87], 0 offen offset:1024// 000000005C0C: E05C1400 80951C26
	v_mfma_i32_16x16x32_i8 v[80:83], a[90:91], a[2:3], v[80:83]// 000000005C14: D3D70050 1D42055A
	v_mfma_i32_16x16x32_i8 v[80:83], a[92:93], a[4:5], v[80:83]// 000000005C1C: D3D70050 1D42095C
	v_mfma_i32_16x16x32_i8 v[80:83], a[94:95], a[6:7], v[80:83]// 000000005C24: D3D70050 1D420D5E
	v_mfma_i32_16x16x32_i8 v[84:87], a[96:97], a[0:1], v[84:87]// 000000005C2C: D3D70054 1D520160
	buffer_load_dwordx4 a[32:35], v39, s[84:87], 0 offen       // 000000005C34: E05C1000 80952027
	s_add_u32 s60, 0x180, s80                                  // 000000005C3C: 803C50FF 00000180
	s_cmp_lt_u32 s60, s81                                      // 000000005C44: BF0A513C
	s_cselect_b32 s57, s57, 0                                  // 000000005C48: 85398039
	v_mfma_i32_16x16x32_i8 v[84:87], a[98:99], a[2:3], v[84:87]// 000000005C4C: D3D70054 1D520562
	s_add_u32 s60, 0x100, s80                                  // 000000005C54: 803C50FF 00000100
	s_cmp_lt_u32 s60, s81                                      // 000000005C5C: BF0A513C
	s_cselect_b32 s58, s58, 0                                  // 000000005C60: 853A803A
	v_mfma_i32_16x16x32_i8 v[84:87], a[100:101], a[4:5], v[84:87]// 000000005C64: D3D70054 1D520964
	s_add_u32 s60, 0x100, s80                                  // 000000005C6C: 803C50FF 00000100
	s_cmp_lt_u32 s60, s81                                      // 000000005C74: BF0A513C
	s_cselect_b32 s83, s83, 0                                  // 000000005C78: 85538053
	v_mfma_i32_16x16x32_i8 v[84:87], a[102:103], a[6:7], v[84:87]// 000000005C7C: D3D70054 1D520D66
	s_add_u32 s24, s58, s24                                    // 000000005C84: 8018183A
	s_addc_u32 s25, 0, s25                                     // 000000005C88: 82191980
	v_mfma_i32_16x16x32_i8 v[88:91], a[104:105], a[0:1], v[88:91]// 000000005C8C: D3D70058 1D620168
	buffer_load_dwordx4 a[36:39], v39, s[84:87], 0 offen offset:1024// 000000005C94: E05C1400 80952427
	s_add_u32 s20, s57, s20                                    // 000000005C9C: 80141439
	s_addc_u32 s21, 0, s21                                     // 000000005CA0: 82151580
	v_mfma_i32_16x16x32_i8 v[88:91], a[106:107], a[2:3], v[88:91]// 000000005CA4: D3D70058 1D62056A
	v_mfma_i32_16x16x32_i8 v[88:91], a[108:109], a[4:5], v[88:91]// 000000005CAC: D3D70058 1D62096C
	v_mfma_i32_16x16x32_i8 v[88:91], a[110:111], a[6:7], v[88:91]// 000000005CB4: D3D70058 1D620D6E
	buffer_load_dwordx4 a[40:43], v40, s[84:87], 0 offen       // 000000005CBC: E05C1000 80952828
	buffer_load_dwordx4 a[44:47], v40, s[84:87], 0 offen offset:1024// 000000005CC4: E05C1400 80952C28
	buffer_load_dwordx4 a[48:51], v41, s[84:87], 0 offen       // 000000005CCC: E05C1000 80953029
	buffer_load_dwordx4 a[52:55], v41, s[84:87], 0 offen offset:1024// 000000005CD4: E05C1400 80953429
	buffer_load_dwordx4 a[56:59], v42, s[84:87], 0 offen       // 000000005CDC: E05C1000 8095382A
	buffer_load_dwordx4 a[60:63], v42, s[84:87], 0 offen offset:1024// 000000005CE4: E05C1400 80953C2A
	s_add_u32 s84, s83, s84                                    // 000000005CEC: 80545453
	s_addc_u32 s85, 0, s85                                     // 000000005CF0: 82555580
	s_addk_i32 s80, 0x80                                       // 000000005CF4: B7500080
	s_cmp_lt_i32 s80, s81                                      // 000000005CF8: BF045150
	s_cbranch_scc0 label_0FC3                                  // 000000005CFC: BF840380
	s_waitcnt vmcnt(14) lgkmcnt(0)                             // 000000005D00: BF8C007E
	v_mfma_i32_16x16x32_i8 v[44:47], a[112:113], a[8:9], v[44:47]// 000000005D04: D3D7002C 1CB21170
	buffer_load_dwordx4 a[64:67], v37, s[24:27], 0 offen       // 000000005D0C: E05C1000 80864025
	v_mfma_i32_16x16x32_i8 v[44:47], a[114:115], a[10:11], v[44:47]// 000000005D14: D3D7002C 1CB21572
	v_mfma_i32_16x16x32_i8 v[44:47], a[116:117], a[12:13], v[44:47]// 000000005D1C: D3D7002C 1CB21974
	v_mfma_i32_16x16x32_i8 v[44:47], a[118:119], a[14:15], v[44:47]// 000000005D24: D3D7002C 1CB21D76
	v_mfma_i32_16x16x32_i8 v[48:51], a[120:121], a[8:9], v[48:51]// 000000005D2C: D3D70030 1CC21178
	buffer_load_dwordx4 a[68:71], v37, s[24:27], 0 offen offset:1024// 000000005D34: E05C1400 80864425
	v_mfma_i32_16x16x32_i8 v[48:51], a[122:123], a[10:11], v[48:51]// 000000005D3C: D3D70030 1CC2157A
	v_mfma_i32_16x16x32_i8 v[48:51], a[124:125], a[12:13], v[48:51]// 000000005D44: D3D70030 1CC2197C
	v_mfma_i32_16x16x32_i8 v[48:51], a[126:127], a[14:15], v[48:51]// 000000005D4C: D3D70030 1CC21D7E
	v_mfma_i32_16x16x32_i8 v[52:55], a[128:129], a[8:9], v[52:55]// 000000005D54: D3D70034 1CD21180
	buffer_load_dwordx4 a[72:75], v38, s[24:27], 0 offen       // 000000005D5C: E05C1000 80864826
	v_mfma_i32_16x16x32_i8 v[52:55], a[130:131], a[10:11], v[52:55]// 000000005D64: D3D70034 1CD21582
	v_mfma_i32_16x16x32_i8 v[52:55], a[132:133], a[12:13], v[52:55]// 000000005D6C: D3D70034 1CD21984
	v_mfma_i32_16x16x32_i8 v[52:55], a[134:135], a[14:15], v[52:55]// 000000005D74: D3D70034 1CD21D86
	v_mfma_i32_16x16x32_i8 v[56:59], a[136:137], a[8:9], v[56:59]// 000000005D7C: D3D70038 1CE21188
	buffer_load_dwordx4 a[76:79], v38, s[24:27], 0 offen offset:1024// 000000005D84: E05C1400 80864C26
	v_mfma_i32_16x16x32_i8 v[56:59], a[138:139], a[10:11], v[56:59]// 000000005D8C: D3D70038 1CE2158A
	v_mfma_i32_16x16x32_i8 v[56:59], a[140:141], a[12:13], v[56:59]// 000000005D94: D3D70038 1CE2198C
	v_mfma_i32_16x16x32_i8 v[56:59], a[142:143], a[14:15], v[56:59]// 000000005D9C: D3D70038 1CE21D8E
	v_mfma_i32_16x16x32_i8 v[60:63], a[144:145], a[8:9], v[60:63]// 000000005DA4: D3D7003C 1CF21190
	buffer_load_dwordx4 a[80:83], v39, s[24:27], 0 offen       // 000000005DAC: E05C1000 80865027
	v_mfma_i32_16x16x32_i8 v[60:63], a[146:147], a[10:11], v[60:63]// 000000005DB4: D3D7003C 1CF21592
	v_mfma_i32_16x16x32_i8 v[60:63], a[148:149], a[12:13], v[60:63]// 000000005DBC: D3D7003C 1CF21994
	v_mfma_i32_16x16x32_i8 v[60:63], a[150:151], a[14:15], v[60:63]// 000000005DC4: D3D7003C 1CF21D96
	v_mfma_i32_16x16x32_i8 v[64:67], a[152:153], a[8:9], v[64:67]// 000000005DCC: D3D70040 1D021198
	buffer_load_dwordx4 a[84:87], v39, s[24:27], 0 offen offset:1024// 000000005DD4: E05C1400 80865427
	v_mfma_i32_16x16x32_i8 v[64:67], a[154:155], a[10:11], v[64:67]// 000000005DDC: D3D70040 1D02159A
	v_mfma_i32_16x16x32_i8 v[64:67], a[156:157], a[12:13], v[64:67]// 000000005DE4: D3D70040 1D02199C
	v_mfma_i32_16x16x32_i8 v[64:67], a[158:159], a[14:15], v[64:67]// 000000005DEC: D3D70040 1D021D9E
	buffer_load_dwordx4 a[88:91], v40, s[24:27], 0 offen       // 000000005DF4: E05C1000 80865828
	buffer_load_dwordx4 a[92:95], v40, s[24:27], 0 offen offset:1024// 000000005DFC: E05C1400 80865C28
	buffer_load_dwordx4 a[96:99], v41, s[24:27], 0 offen       // 000000005E04: E05C1000 80866029
	buffer_load_dwordx4 a[100:103], v41, s[24:27], 0 offen offset:1024// 000000005E0C: E05C1400 80866429
	buffer_load_dwordx4 a[104:107], v42, s[24:27], 0 offen     // 000000005E14: E05C1000 8086682A
	buffer_load_dwordx4 a[108:111], v42, s[24:27], 0 offen offset:1024// 000000005E1C: E05C1400 80866C2A
	buffer_load_dword v35, s[20:23], 0 offen lds               // 000000005E24: E0511000 80050023
	s_add_u32 m0, 0x100, s48                                   // 000000005E2C: 807C30FF 00000100
	buffer_load_dword v36, s[20:23], 0 offen lds               // 000000005E34: E0511000 80050024
	s_add_u32 m0, 0, s49                                       // 000000005E3C: 807C3180
	s_waitcnt vmcnt(14)                                        // 000000005E40: BF8C0F7E
	s_barrier                                                  // 000000005E44: BF8A0000
	v_mfma_i32_16x16x32_i8 v[68:71], a[16:17], a[8:9], v[68:71]// 000000005E48: D3D70044 1D121110
	buffer_load_dwordx4 a[112:115], v37, s[84:87], 0 offen     // 000000005E50: E05C1000 80957025
	v_mfma_i32_16x16x32_i8 v[68:71], a[18:19], a[10:11], v[68:71]// 000000005E58: D3D70044 1D121512
	v_mfma_i32_16x16x32_i8 v[68:71], a[20:21], a[12:13], v[68:71]// 000000005E60: D3D70044 1D121914
	ds_read_b128 a[0:3], v2 offset:4352                        // 000000005E68: DBFE1100 00000002
	ds_read_b128 a[4:7], v2 offset:4416                        // 000000005E70: DBFE1140 04000002
	v_mfma_i32_16x16x32_i8 v[68:71], a[22:23], a[14:15], v[68:71]// 000000005E78: D3D70044 1D121D16
	v_mfma_i32_16x16x32_i8 v[72:75], a[24:25], a[8:9], v[72:75]// 000000005E80: D3D70048 1D221118
	buffer_load_dwordx4 a[116:119], v37, s[84:87], 0 offen offset:1024// 000000005E88: E05C1400 80957425
	v_mfma_i32_16x16x32_i8 v[72:75], a[26:27], a[10:11], v[72:75]// 000000005E90: D3D70048 1D22151A
	v_mfma_i32_16x16x32_i8 v[72:75], a[28:29], a[12:13], v[72:75]// 000000005E98: D3D70048 1D22191C
	v_mfma_i32_16x16x32_i8 v[72:75], a[30:31], a[14:15], v[72:75]// 000000005EA0: D3D70048 1D221D1E
	v_mfma_i32_16x16x32_i8 v[76:79], a[32:33], a[8:9], v[76:79]// 000000005EA8: D3D7004C 1D321120
	buffer_load_dwordx4 a[120:123], v38, s[84:87], 0 offen     // 000000005EB0: E05C1000 80957826
	v_mfma_i32_16x16x32_i8 v[76:79], a[34:35], a[10:11], v[76:79]// 000000005EB8: D3D7004C 1D321522
	v_mfma_i32_16x16x32_i8 v[76:79], a[36:37], a[12:13], v[76:79]// 000000005EC0: D3D7004C 1D321924
	v_mfma_i32_16x16x32_i8 v[76:79], a[38:39], a[14:15], v[76:79]// 000000005EC8: D3D7004C 1D321D26
	v_mfma_i32_16x16x32_i8 v[80:83], a[40:41], a[8:9], v[80:83]// 000000005ED0: D3D70050 1D421128
	buffer_load_dwordx4 a[124:127], v38, s[84:87], 0 offen offset:1024// 000000005ED8: E05C1400 80957C26
	v_mfma_i32_16x16x32_i8 v[80:83], a[42:43], a[10:11], v[80:83]// 000000005EE0: D3D70050 1D42152A
	v_mfma_i32_16x16x32_i8 v[80:83], a[44:45], a[12:13], v[80:83]// 000000005EE8: D3D70050 1D42192C
	v_mfma_i32_16x16x32_i8 v[80:83], a[46:47], a[14:15], v[80:83]// 000000005EF0: D3D70050 1D421D2E
	v_mfma_i32_16x16x32_i8 v[84:87], a[48:49], a[8:9], v[84:87]// 000000005EF8: D3D70054 1D521130
	buffer_load_dwordx4 a[128:131], v39, s[84:87], 0 offen     // 000000005F00: E05C1000 80958027
	s_add_u32 s60, 0x180, s80                                  // 000000005F08: 803C50FF 00000180
	s_cmp_lt_u32 s60, s81                                      // 000000005F10: BF0A513C
	s_cselect_b32 s57, s57, 0                                  // 000000005F14: 85398039
	v_mfma_i32_16x16x32_i8 v[84:87], a[50:51], a[10:11], v[84:87]// 000000005F18: D3D70054 1D521532
	s_add_u32 s60, 0x100, s80                                  // 000000005F20: 803C50FF 00000100
	s_cmp_lt_u32 s60, s81                                      // 000000005F28: BF0A513C
	s_cselect_b32 s58, s58, 0                                  // 000000005F2C: 853A803A
	v_mfma_i32_16x16x32_i8 v[84:87], a[52:53], a[12:13], v[84:87]// 000000005F30: D3D70054 1D521934
	s_add_u32 s60, 0x100, s80                                  // 000000005F38: 803C50FF 00000100
	s_cmp_lt_u32 s60, s81                                      // 000000005F40: BF0A513C
	s_cselect_b32 s83, s83, 0                                  // 000000005F44: 85538053
	v_mfma_i32_16x16x32_i8 v[84:87], a[54:55], a[14:15], v[84:87]// 000000005F48: D3D70054 1D521D36
	s_add_u32 s24, s58, s24                                    // 000000005F50: 8018183A
	s_addc_u32 s25, 0, s25                                     // 000000005F54: 82191980
	v_mfma_i32_16x16x32_i8 v[88:91], a[56:57], a[8:9], v[88:91]// 000000005F58: D3D70058 1D621138
	buffer_load_dwordx4 a[132:135], v39, s[84:87], 0 offen offset:1024// 000000005F60: E05C1400 80958427
	s_add_u32 s20, s57, s20                                    // 000000005F68: 80141439
	s_addc_u32 s21, 0, s21                                     // 000000005F6C: 82151580
	v_mfma_i32_16x16x32_i8 v[88:91], a[58:59], a[10:11], v[88:91]// 000000005F70: D3D70058 1D62153A
	v_mfma_i32_16x16x32_i8 v[88:91], a[60:61], a[12:13], v[88:91]// 000000005F78: D3D70058 1D62193C
	v_mfma_i32_16x16x32_i8 v[88:91], a[62:63], a[14:15], v[88:91]// 000000005F80: D3D70058 1D621D3E
	buffer_load_dwordx4 a[136:139], v40, s[84:87], 0 offen     // 000000005F88: E05C1000 80958828
	buffer_load_dwordx4 a[140:143], v40, s[84:87], 0 offen offset:1024// 000000005F90: E05C1400 80958C28
	buffer_load_dwordx4 a[144:147], v41, s[84:87], 0 offen     // 000000005F98: E05C1000 80959029
	buffer_load_dwordx4 a[148:151], v41, s[84:87], 0 offen offset:1024// 000000005FA0: E05C1400 80959429
	buffer_load_dwordx4 a[152:155], v42, s[84:87], 0 offen     // 000000005FA8: E05C1000 8095982A
	buffer_load_dwordx4 a[156:159], v42, s[84:87], 0 offen offset:1024// 000000005FB0: E05C1400 80959C2A
	s_add_u32 s84, s83, s84                                    // 000000005FB8: 80545453
	s_addc_u32 s85, 0, s85                                     // 000000005FBC: 82555580
	s_addk_i32 s80, 0x80                                       // 000000005FC0: B7500080
	s_cmp_lt_i32 s80, s81                                      // 000000005FC4: BF045150
	s_cbranch_scc0 label_0FC3                                  // 000000005FC8: BF8402CD
	s_waitcnt vmcnt(14) lgkmcnt(0)                             // 000000005FCC: BF8C007E
	v_mfma_i32_16x16x32_i8 v[44:47], a[64:65], a[0:1], v[44:47]// 000000005FD0: D3D7002C 1CB20140
	buffer_load_dwordx4 a[16:19], v37, s[24:27], 0 offen       // 000000005FD8: E05C1000 80861025
	v_mfma_i32_16x16x32_i8 v[44:47], a[66:67], a[2:3], v[44:47]// 000000005FE0: D3D7002C 1CB20542
	v_mfma_i32_16x16x32_i8 v[44:47], a[68:69], a[4:5], v[44:47]// 000000005FE8: D3D7002C 1CB20944
	v_mfma_i32_16x16x32_i8 v[44:47], a[70:71], a[6:7], v[44:47]// 000000005FF0: D3D7002C 1CB20D46
	v_mfma_i32_16x16x32_i8 v[48:51], a[72:73], a[0:1], v[48:51]// 000000005FF8: D3D70030 1CC20148
	buffer_load_dwordx4 a[20:23], v37, s[24:27], 0 offen offset:1024// 000000006000: E05C1400 80861425
	v_mfma_i32_16x16x32_i8 v[48:51], a[74:75], a[2:3], v[48:51]// 000000006008: D3D70030 1CC2054A
	v_mfma_i32_16x16x32_i8 v[48:51], a[76:77], a[4:5], v[48:51]// 000000006010: D3D70030 1CC2094C
	v_mfma_i32_16x16x32_i8 v[48:51], a[78:79], a[6:7], v[48:51]// 000000006018: D3D70030 1CC20D4E
	v_mfma_i32_16x16x32_i8 v[52:55], a[80:81], a[0:1], v[52:55]// 000000006020: D3D70034 1CD20150
	buffer_load_dwordx4 a[24:27], v38, s[24:27], 0 offen       // 000000006028: E05C1000 80861826
	v_mfma_i32_16x16x32_i8 v[52:55], a[82:83], a[2:3], v[52:55]// 000000006030: D3D70034 1CD20552
	v_mfma_i32_16x16x32_i8 v[52:55], a[84:85], a[4:5], v[52:55]// 000000006038: D3D70034 1CD20954
	v_mfma_i32_16x16x32_i8 v[52:55], a[86:87], a[6:7], v[52:55]// 000000006040: D3D70034 1CD20D56
	v_mfma_i32_16x16x32_i8 v[56:59], a[88:89], a[0:1], v[56:59]// 000000006048: D3D70038 1CE20158
	buffer_load_dwordx4 a[28:31], v38, s[24:27], 0 offen offset:1024// 000000006050: E05C1400 80861C26
	v_mfma_i32_16x16x32_i8 v[56:59], a[90:91], a[2:3], v[56:59]// 000000006058: D3D70038 1CE2055A
	v_mfma_i32_16x16x32_i8 v[56:59], a[92:93], a[4:5], v[56:59]// 000000006060: D3D70038 1CE2095C
	v_mfma_i32_16x16x32_i8 v[56:59], a[94:95], a[6:7], v[56:59]// 000000006068: D3D70038 1CE20D5E
	v_mfma_i32_16x16x32_i8 v[60:63], a[96:97], a[0:1], v[60:63]// 000000006070: D3D7003C 1CF20160
	buffer_load_dwordx4 a[32:35], v39, s[24:27], 0 offen       // 000000006078: E05C1000 80862027
	v_mfma_i32_16x16x32_i8 v[60:63], a[98:99], a[2:3], v[60:63]// 000000006080: D3D7003C 1CF20562
	v_mfma_i32_16x16x32_i8 v[60:63], a[100:101], a[4:5], v[60:63]// 000000006088: D3D7003C 1CF20964
	v_mfma_i32_16x16x32_i8 v[60:63], a[102:103], a[6:7], v[60:63]// 000000006090: D3D7003C 1CF20D66
	v_mfma_i32_16x16x32_i8 v[64:67], a[104:105], a[0:1], v[64:67]// 000000006098: D3D70040 1D020168
	buffer_load_dwordx4 a[36:39], v39, s[24:27], 0 offen offset:1024// 0000000060A0: E05C1400 80862427
	v_mfma_i32_16x16x32_i8 v[64:67], a[106:107], a[2:3], v[64:67]// 0000000060A8: D3D70040 1D02056A
	v_mfma_i32_16x16x32_i8 v[64:67], a[108:109], a[4:5], v[64:67]// 0000000060B0: D3D70040 1D02096C
	v_mfma_i32_16x16x32_i8 v[64:67], a[110:111], a[6:7], v[64:67]// 0000000060B8: D3D70040 1D020D6E
	buffer_load_dwordx4 a[40:43], v40, s[24:27], 0 offen       // 0000000060C0: E05C1000 80862828
	buffer_load_dwordx4 a[44:47], v40, s[24:27], 0 offen offset:1024// 0000000060C8: E05C1400 80862C28
	buffer_load_dwordx4 a[48:51], v41, s[24:27], 0 offen       // 0000000060D0: E05C1000 80863029
	buffer_load_dwordx4 a[52:55], v41, s[24:27], 0 offen offset:1024// 0000000060D8: E05C1400 80863429
	buffer_load_dwordx4 a[56:59], v42, s[24:27], 0 offen       // 0000000060E0: E05C1000 8086382A
	buffer_load_dwordx4 a[60:63], v42, s[24:27], 0 offen offset:1024// 0000000060E8: E05C1400 80863C2A
	buffer_load_dword v35, s[20:23], 0 offen lds               // 0000000060F0: E0511000 80050023
	s_add_u32 m0, 0x100, s49                                   // 0000000060F8: 807C31FF 00000100
	buffer_load_dword v36, s[20:23], 0 offen lds               // 000000006100: E0511000 80050024
	s_add_u32 m0, 0, s50                                       // 000000006108: 807C3280
	s_waitcnt vmcnt(14)                                        // 00000000610C: BF8C0F7E
	s_barrier                                                  // 000000006110: BF8A0000
	v_mfma_i32_16x16x32_i8 v[68:71], a[112:113], a[0:1], v[68:71]// 000000006114: D3D70044 1D120170
	buffer_load_dwordx4 a[64:67], v37, s[84:87], 0 offen       // 00000000611C: E05C1000 80954025
	v_mfma_i32_16x16x32_i8 v[68:71], a[114:115], a[2:3], v[68:71]// 000000006124: D3D70044 1D120572
	v_mfma_i32_16x16x32_i8 v[68:71], a[116:117], a[4:5], v[68:71]// 00000000612C: D3D70044 1D120974
	ds_read_b128 a[8:11], v2                                   // 000000006134: DBFE0000 08000002
	ds_read_b128 a[12:15], v2 offset:64                        // 00000000613C: DBFE0040 0C000002
	v_mfma_i32_16x16x32_i8 v[68:71], a[118:119], a[6:7], v[68:71]// 000000006144: D3D70044 1D120D76
	v_mfma_i32_16x16x32_i8 v[72:75], a[120:121], a[0:1], v[72:75]// 00000000614C: D3D70048 1D220178
	buffer_load_dwordx4 a[68:71], v37, s[84:87], 0 offen offset:1024// 000000006154: E05C1400 80954425
	v_mfma_i32_16x16x32_i8 v[72:75], a[122:123], a[2:3], v[72:75]// 00000000615C: D3D70048 1D22057A
	v_mfma_i32_16x16x32_i8 v[72:75], a[124:125], a[4:5], v[72:75]// 000000006164: D3D70048 1D22097C
	v_mfma_i32_16x16x32_i8 v[72:75], a[126:127], a[6:7], v[72:75]// 00000000616C: D3D70048 1D220D7E
	v_mfma_i32_16x16x32_i8 v[76:79], a[128:129], a[0:1], v[76:79]// 000000006174: D3D7004C 1D320180
	buffer_load_dwordx4 a[72:75], v38, s[84:87], 0 offen       // 00000000617C: E05C1000 80954826
	v_mfma_i32_16x16x32_i8 v[76:79], a[130:131], a[2:3], v[76:79]// 000000006184: D3D7004C 1D320582
	v_mfma_i32_16x16x32_i8 v[76:79], a[132:133], a[4:5], v[76:79]// 00000000618C: D3D7004C 1D320984
	v_mfma_i32_16x16x32_i8 v[76:79], a[134:135], a[6:7], v[76:79]// 000000006194: D3D7004C 1D320D86
	v_mfma_i32_16x16x32_i8 v[80:83], a[136:137], a[0:1], v[80:83]// 00000000619C: D3D70050 1D420188
	buffer_load_dwordx4 a[76:79], v38, s[84:87], 0 offen offset:1024// 0000000061A4: E05C1400 80954C26
	v_mfma_i32_16x16x32_i8 v[80:83], a[138:139], a[2:3], v[80:83]// 0000000061AC: D3D70050 1D42058A
	v_mfma_i32_16x16x32_i8 v[80:83], a[140:141], a[4:5], v[80:83]// 0000000061B4: D3D70050 1D42098C
	v_mfma_i32_16x16x32_i8 v[80:83], a[142:143], a[6:7], v[80:83]// 0000000061BC: D3D70050 1D420D8E
	v_mfma_i32_16x16x32_i8 v[84:87], a[144:145], a[0:1], v[84:87]// 0000000061C4: D3D70054 1D520190
	buffer_load_dwordx4 a[80:83], v39, s[84:87], 0 offen       // 0000000061CC: E05C1000 80955027
	s_add_u32 s60, 0x180, s80                                  // 0000000061D4: 803C50FF 00000180
	s_cmp_lt_u32 s60, s81                                      // 0000000061DC: BF0A513C
	s_cselect_b32 s57, s57, 0                                  // 0000000061E0: 85398039
	v_mfma_i32_16x16x32_i8 v[84:87], a[146:147], a[2:3], v[84:87]// 0000000061E4: D3D70054 1D520592
	s_add_u32 s60, 0x100, s80                                  // 0000000061EC: 803C50FF 00000100
	s_cmp_lt_u32 s60, s81                                      // 0000000061F4: BF0A513C
	s_cselect_b32 s58, s58, 0                                  // 0000000061F8: 853A803A
	v_mfma_i32_16x16x32_i8 v[84:87], a[148:149], a[4:5], v[84:87]// 0000000061FC: D3D70054 1D520994
	s_add_u32 s60, 0x100, s80                                  // 000000006204: 803C50FF 00000100
	s_cmp_lt_u32 s60, s81                                      // 00000000620C: BF0A513C
	s_cselect_b32 s83, s83, 0                                  // 000000006210: 85538053
	v_mfma_i32_16x16x32_i8 v[84:87], a[150:151], a[6:7], v[84:87]// 000000006214: D3D70054 1D520D96
	s_add_u32 s24, s58, s24                                    // 00000000621C: 8018183A
	s_addc_u32 s25, 0, s25                                     // 000000006220: 82191980
	v_mfma_i32_16x16x32_i8 v[88:91], a[152:153], a[0:1], v[88:91]// 000000006224: D3D70058 1D620198
	buffer_load_dwordx4 a[84:87], v39, s[84:87], 0 offen offset:1024// 00000000622C: E05C1400 80955427
	s_add_u32 s20, s57, s20                                    // 000000006234: 80141439
	s_addc_u32 s21, 0, s21                                     // 000000006238: 82151580
	v_mfma_i32_16x16x32_i8 v[88:91], a[154:155], a[2:3], v[88:91]// 00000000623C: D3D70058 1D62059A
	v_mfma_i32_16x16x32_i8 v[88:91], a[156:157], a[4:5], v[88:91]// 000000006244: D3D70058 1D62099C
	v_mfma_i32_16x16x32_i8 v[88:91], a[158:159], a[6:7], v[88:91]// 00000000624C: D3D70058 1D620D9E
	buffer_load_dwordx4 a[88:91], v40, s[84:87], 0 offen       // 000000006254: E05C1000 80955828
	buffer_load_dwordx4 a[92:95], v40, s[84:87], 0 offen offset:1024// 00000000625C: E05C1400 80955C28
	buffer_load_dwordx4 a[96:99], v41, s[84:87], 0 offen       // 000000006264: E05C1000 80956029
	buffer_load_dwordx4 a[100:103], v41, s[84:87], 0 offen offset:1024// 00000000626C: E05C1400 80956429
	buffer_load_dwordx4 a[104:107], v42, s[84:87], 0 offen     // 000000006274: E05C1000 8095682A
	buffer_load_dwordx4 a[108:111], v42, s[84:87], 0 offen offset:1024// 00000000627C: E05C1400 80956C2A
	s_add_u32 s84, s83, s84                                    // 000000006284: 80545453
	s_addc_u32 s85, 0, s85                                     // 000000006288: 82555580
	s_addk_i32 s80, 0x80                                       // 00000000628C: B7500080
	s_cmp_lt_i32 s80, s81                                      // 000000006290: BF045150
	s_cbranch_scc0 label_0FC3                                  // 000000006294: BF84021A
	s_waitcnt vmcnt(14) lgkmcnt(0)                             // 000000006298: BF8C007E
	v_mfma_i32_16x16x32_i8 v[44:47], a[16:17], a[8:9], v[44:47]// 00000000629C: D3D7002C 1CB21110
	buffer_load_dwordx4 a[112:115], v37, s[24:27], 0 offen     // 0000000062A4: E05C1000 80867025
	v_mfma_i32_16x16x32_i8 v[44:47], a[18:19], a[10:11], v[44:47]// 0000000062AC: D3D7002C 1CB21512
	v_mfma_i32_16x16x32_i8 v[44:47], a[20:21], a[12:13], v[44:47]// 0000000062B4: D3D7002C 1CB21914
	v_mfma_i32_16x16x32_i8 v[44:47], a[22:23], a[14:15], v[44:47]// 0000000062BC: D3D7002C 1CB21D16
	v_mfma_i32_16x16x32_i8 v[48:51], a[24:25], a[8:9], v[48:51]// 0000000062C4: D3D70030 1CC21118
	buffer_load_dwordx4 a[116:119], v37, s[24:27], 0 offen offset:1024// 0000000062CC: E05C1400 80867425
	v_mfma_i32_16x16x32_i8 v[48:51], a[26:27], a[10:11], v[48:51]// 0000000062D4: D3D70030 1CC2151A
	v_mfma_i32_16x16x32_i8 v[48:51], a[28:29], a[12:13], v[48:51]// 0000000062DC: D3D70030 1CC2191C
	v_mfma_i32_16x16x32_i8 v[48:51], a[30:31], a[14:15], v[48:51]// 0000000062E4: D3D70030 1CC21D1E
	v_mfma_i32_16x16x32_i8 v[52:55], a[32:33], a[8:9], v[52:55]// 0000000062EC: D3D70034 1CD21120
	buffer_load_dwordx4 a[120:123], v38, s[24:27], 0 offen     // 0000000062F4: E05C1000 80867826
	v_mfma_i32_16x16x32_i8 v[52:55], a[34:35], a[10:11], v[52:55]// 0000000062FC: D3D70034 1CD21522
	v_mfma_i32_16x16x32_i8 v[52:55], a[36:37], a[12:13], v[52:55]// 000000006304: D3D70034 1CD21924
	v_mfma_i32_16x16x32_i8 v[52:55], a[38:39], a[14:15], v[52:55]// 00000000630C: D3D70034 1CD21D26
	v_mfma_i32_16x16x32_i8 v[56:59], a[40:41], a[8:9], v[56:59]// 000000006314: D3D70038 1CE21128
	buffer_load_dwordx4 a[124:127], v38, s[24:27], 0 offen offset:1024// 00000000631C: E05C1400 80867C26
	v_mfma_i32_16x16x32_i8 v[56:59], a[42:43], a[10:11], v[56:59]// 000000006324: D3D70038 1CE2152A
	v_mfma_i32_16x16x32_i8 v[56:59], a[44:45], a[12:13], v[56:59]// 00000000632C: D3D70038 1CE2192C
	v_mfma_i32_16x16x32_i8 v[56:59], a[46:47], a[14:15], v[56:59]// 000000006334: D3D70038 1CE21D2E
	v_mfma_i32_16x16x32_i8 v[60:63], a[48:49], a[8:9], v[60:63]// 00000000633C: D3D7003C 1CF21130
	buffer_load_dwordx4 a[128:131], v39, s[24:27], 0 offen     // 000000006344: E05C1000 80868027
	v_mfma_i32_16x16x32_i8 v[60:63], a[50:51], a[10:11], v[60:63]// 00000000634C: D3D7003C 1CF21532
	v_mfma_i32_16x16x32_i8 v[60:63], a[52:53], a[12:13], v[60:63]// 000000006354: D3D7003C 1CF21934
	v_mfma_i32_16x16x32_i8 v[60:63], a[54:55], a[14:15], v[60:63]// 00000000635C: D3D7003C 1CF21D36
	v_mfma_i32_16x16x32_i8 v[64:67], a[56:57], a[8:9], v[64:67]// 000000006364: D3D70040 1D021138
	buffer_load_dwordx4 a[132:135], v39, s[24:27], 0 offen offset:1024// 00000000636C: E05C1400 80868427
	v_mfma_i32_16x16x32_i8 v[64:67], a[58:59], a[10:11], v[64:67]// 000000006374: D3D70040 1D02153A
	v_mfma_i32_16x16x32_i8 v[64:67], a[60:61], a[12:13], v[64:67]// 00000000637C: D3D70040 1D02193C
	v_mfma_i32_16x16x32_i8 v[64:67], a[62:63], a[14:15], v[64:67]// 000000006384: D3D70040 1D021D3E
	buffer_load_dwordx4 a[136:139], v40, s[24:27], 0 offen     // 00000000638C: E05C1000 80868828
	buffer_load_dwordx4 a[140:143], v40, s[24:27], 0 offen offset:1024// 000000006394: E05C1400 80868C28
	buffer_load_dwordx4 a[144:147], v41, s[24:27], 0 offen     // 00000000639C: E05C1000 80869029
	buffer_load_dwordx4 a[148:151], v41, s[24:27], 0 offen offset:1024// 0000000063A4: E05C1400 80869429
	buffer_load_dwordx4 a[152:155], v42, s[24:27], 0 offen     // 0000000063AC: E05C1000 8086982A
	buffer_load_dwordx4 a[156:159], v42, s[24:27], 0 offen offset:1024// 0000000063B4: E05C1400 80869C2A
	buffer_load_dword v35, s[20:23], 0 offen lds               // 0000000063BC: E0511000 80050023
	s_add_u32 m0, 0x100, s50                                   // 0000000063C4: 807C32FF 00000100
	buffer_load_dword v36, s[20:23], 0 offen lds               // 0000000063CC: E0511000 80050024
	s_add_u32 m0, 0, s48                                       // 0000000063D4: 807C3080
	s_waitcnt vmcnt(14)                                        // 0000000063D8: BF8C0F7E
	s_barrier                                                  // 0000000063DC: BF8A0000
	v_mfma_i32_16x16x32_i8 v[68:71], a[64:65], a[8:9], v[68:71]// 0000000063E0: D3D70044 1D121140
	buffer_load_dwordx4 a[16:19], v37, s[84:87], 0 offen       // 0000000063E8: E05C1000 80951025
	v_mfma_i32_16x16x32_i8 v[68:71], a[66:67], a[10:11], v[68:71]// 0000000063F0: D3D70044 1D121542
	v_mfma_i32_16x16x32_i8 v[68:71], a[68:69], a[12:13], v[68:71]// 0000000063F8: D3D70044 1D121944
	ds_read_b128 a[0:3], v2 offset:2176                        // 000000006400: DBFE0880 00000002
	ds_read_b128 a[4:7], v2 offset:2240                        // 000000006408: DBFE08C0 04000002
	v_mfma_i32_16x16x32_i8 v[68:71], a[70:71], a[14:15], v[68:71]// 000000006410: D3D70044 1D121D46
	v_mfma_i32_16x16x32_i8 v[72:75], a[72:73], a[8:9], v[72:75]// 000000006418: D3D70048 1D221148
	buffer_load_dwordx4 a[20:23], v37, s[84:87], 0 offen offset:1024// 000000006420: E05C1400 80951425
	v_mfma_i32_16x16x32_i8 v[72:75], a[74:75], a[10:11], v[72:75]// 000000006428: D3D70048 1D22154A
	v_mfma_i32_16x16x32_i8 v[72:75], a[76:77], a[12:13], v[72:75]// 000000006430: D3D70048 1D22194C
	v_mfma_i32_16x16x32_i8 v[72:75], a[78:79], a[14:15], v[72:75]// 000000006438: D3D70048 1D221D4E
	v_mfma_i32_16x16x32_i8 v[76:79], a[80:81], a[8:9], v[76:79]// 000000006440: D3D7004C 1D321150
	buffer_load_dwordx4 a[24:27], v38, s[84:87], 0 offen       // 000000006448: E05C1000 80951826
	v_mfma_i32_16x16x32_i8 v[76:79], a[82:83], a[10:11], v[76:79]// 000000006450: D3D7004C 1D321552
	v_mfma_i32_16x16x32_i8 v[76:79], a[84:85], a[12:13], v[76:79]// 000000006458: D3D7004C 1D321954
	v_mfma_i32_16x16x32_i8 v[76:79], a[86:87], a[14:15], v[76:79]// 000000006460: D3D7004C 1D321D56
	v_mfma_i32_16x16x32_i8 v[80:83], a[88:89], a[8:9], v[80:83]// 000000006468: D3D70050 1D421158
	buffer_load_dwordx4 a[28:31], v38, s[84:87], 0 offen offset:1024// 000000006470: E05C1400 80951C26
	v_mfma_i32_16x16x32_i8 v[80:83], a[90:91], a[10:11], v[80:83]// 000000006478: D3D70050 1D42155A
	v_mfma_i32_16x16x32_i8 v[80:83], a[92:93], a[12:13], v[80:83]// 000000006480: D3D70050 1D42195C
	v_mfma_i32_16x16x32_i8 v[80:83], a[94:95], a[14:15], v[80:83]// 000000006488: D3D70050 1D421D5E
	v_mfma_i32_16x16x32_i8 v[84:87], a[96:97], a[8:9], v[84:87]// 000000006490: D3D70054 1D521160
	buffer_load_dwordx4 a[32:35], v39, s[84:87], 0 offen       // 000000006498: E05C1000 80952027
	s_add_u32 s60, 0x180, s80                                  // 0000000064A0: 803C50FF 00000180
	s_cmp_lt_u32 s60, s81                                      // 0000000064A8: BF0A513C
	s_cselect_b32 s57, s57, 0                                  // 0000000064AC: 85398039
	v_mfma_i32_16x16x32_i8 v[84:87], a[98:99], a[10:11], v[84:87]// 0000000064B0: D3D70054 1D521562
	s_add_u32 s60, 0x100, s80                                  // 0000000064B8: 803C50FF 00000100
	s_cmp_lt_u32 s60, s81                                      // 0000000064C0: BF0A513C
	s_cselect_b32 s58, s58, 0                                  // 0000000064C4: 853A803A
	v_mfma_i32_16x16x32_i8 v[84:87], a[100:101], a[12:13], v[84:87]// 0000000064C8: D3D70054 1D521964
	s_add_u32 s60, 0x100, s80                                  // 0000000064D0: 803C50FF 00000100
	s_cmp_lt_u32 s60, s81                                      // 0000000064D8: BF0A513C
	s_cselect_b32 s83, s83, 0                                  // 0000000064DC: 85538053
	v_mfma_i32_16x16x32_i8 v[84:87], a[102:103], a[14:15], v[84:87]// 0000000064E0: D3D70054 1D521D66
	s_add_u32 s24, s58, s24                                    // 0000000064E8: 8018183A
	s_addc_u32 s25, 0, s25                                     // 0000000064EC: 82191980
	v_mfma_i32_16x16x32_i8 v[88:91], a[104:105], a[8:9], v[88:91]// 0000000064F0: D3D70058 1D621168
	buffer_load_dwordx4 a[36:39], v39, s[84:87], 0 offen offset:1024// 0000000064F8: E05C1400 80952427
	s_add_u32 s20, s57, s20                                    // 000000006500: 80141439
	s_addc_u32 s21, 0, s21                                     // 000000006504: 82151580
	v_mfma_i32_16x16x32_i8 v[88:91], a[106:107], a[10:11], v[88:91]// 000000006508: D3D70058 1D62156A
	v_mfma_i32_16x16x32_i8 v[88:91], a[108:109], a[12:13], v[88:91]// 000000006510: D3D70058 1D62196C
	v_mfma_i32_16x16x32_i8 v[88:91], a[110:111], a[14:15], v[88:91]// 000000006518: D3D70058 1D621D6E
	buffer_load_dwordx4 a[40:43], v40, s[84:87], 0 offen       // 000000006520: E05C1000 80952828
	buffer_load_dwordx4 a[44:47], v40, s[84:87], 0 offen offset:1024// 000000006528: E05C1400 80952C28
	buffer_load_dwordx4 a[48:51], v41, s[84:87], 0 offen       // 000000006530: E05C1000 80953029
	buffer_load_dwordx4 a[52:55], v41, s[84:87], 0 offen offset:1024// 000000006538: E05C1400 80953429
	buffer_load_dwordx4 a[56:59], v42, s[84:87], 0 offen       // 000000006540: E05C1000 8095382A
	buffer_load_dwordx4 a[60:63], v42, s[84:87], 0 offen offset:1024// 000000006548: E05C1400 80953C2A
	s_add_u32 s84, s83, s84                                    // 000000006550: 80545453
	s_addc_u32 s85, 0, s85                                     // 000000006554: 82555580
	s_addk_i32 s80, 0x80                                       // 000000006558: B7500080
	s_cmp_lt_i32 s80, s81                                      // 00000000655C: BF045150
	s_cbranch_scc0 label_0FC3                                  // 000000006560: BF840167
	s_waitcnt vmcnt(14) lgkmcnt(0)                             // 000000006564: BF8C007E
	v_mfma_i32_16x16x32_i8 v[44:47], a[112:113], a[0:1], v[44:47]// 000000006568: D3D7002C 1CB20170
	buffer_load_dwordx4 a[64:67], v37, s[24:27], 0 offen       // 000000006570: E05C1000 80864025
	v_mfma_i32_16x16x32_i8 v[44:47], a[114:115], a[2:3], v[44:47]// 000000006578: D3D7002C 1CB20572
	v_mfma_i32_16x16x32_i8 v[44:47], a[116:117], a[4:5], v[44:47]// 000000006580: D3D7002C 1CB20974
	v_mfma_i32_16x16x32_i8 v[44:47], a[118:119], a[6:7], v[44:47]// 000000006588: D3D7002C 1CB20D76
	v_mfma_i32_16x16x32_i8 v[48:51], a[120:121], a[0:1], v[48:51]// 000000006590: D3D70030 1CC20178
	buffer_load_dwordx4 a[68:71], v37, s[24:27], 0 offen offset:1024// 000000006598: E05C1400 80864425
	v_mfma_i32_16x16x32_i8 v[48:51], a[122:123], a[2:3], v[48:51]// 0000000065A0: D3D70030 1CC2057A
	v_mfma_i32_16x16x32_i8 v[48:51], a[124:125], a[4:5], v[48:51]// 0000000065A8: D3D70030 1CC2097C
	v_mfma_i32_16x16x32_i8 v[48:51], a[126:127], a[6:7], v[48:51]// 0000000065B0: D3D70030 1CC20D7E
	v_mfma_i32_16x16x32_i8 v[52:55], a[128:129], a[0:1], v[52:55]// 0000000065B8: D3D70034 1CD20180
	buffer_load_dwordx4 a[72:75], v38, s[24:27], 0 offen       // 0000000065C0: E05C1000 80864826
	v_mfma_i32_16x16x32_i8 v[52:55], a[130:131], a[2:3], v[52:55]// 0000000065C8: D3D70034 1CD20582
	v_mfma_i32_16x16x32_i8 v[52:55], a[132:133], a[4:5], v[52:55]// 0000000065D0: D3D70034 1CD20984
	v_mfma_i32_16x16x32_i8 v[52:55], a[134:135], a[6:7], v[52:55]// 0000000065D8: D3D70034 1CD20D86
	v_mfma_i32_16x16x32_i8 v[56:59], a[136:137], a[0:1], v[56:59]// 0000000065E0: D3D70038 1CE20188
	buffer_load_dwordx4 a[76:79], v38, s[24:27], 0 offen offset:1024// 0000000065E8: E05C1400 80864C26
	v_mfma_i32_16x16x32_i8 v[56:59], a[138:139], a[2:3], v[56:59]// 0000000065F0: D3D70038 1CE2058A
	v_mfma_i32_16x16x32_i8 v[56:59], a[140:141], a[4:5], v[56:59]// 0000000065F8: D3D70038 1CE2098C
	v_mfma_i32_16x16x32_i8 v[56:59], a[142:143], a[6:7], v[56:59]// 000000006600: D3D70038 1CE20D8E
	v_mfma_i32_16x16x32_i8 v[60:63], a[144:145], a[0:1], v[60:63]// 000000006608: D3D7003C 1CF20190
	buffer_load_dwordx4 a[80:83], v39, s[24:27], 0 offen       // 000000006610: E05C1000 80865027
	v_mfma_i32_16x16x32_i8 v[60:63], a[146:147], a[2:3], v[60:63]// 000000006618: D3D7003C 1CF20592
	v_mfma_i32_16x16x32_i8 v[60:63], a[148:149], a[4:5], v[60:63]// 000000006620: D3D7003C 1CF20994
	v_mfma_i32_16x16x32_i8 v[60:63], a[150:151], a[6:7], v[60:63]// 000000006628: D3D7003C 1CF20D96
	v_mfma_i32_16x16x32_i8 v[64:67], a[152:153], a[0:1], v[64:67]// 000000006630: D3D70040 1D020198
	buffer_load_dwordx4 a[84:87], v39, s[24:27], 0 offen offset:1024// 000000006638: E05C1400 80865427
	v_mfma_i32_16x16x32_i8 v[64:67], a[154:155], a[2:3], v[64:67]// 000000006640: D3D70040 1D02059A
	v_mfma_i32_16x16x32_i8 v[64:67], a[156:157], a[4:5], v[64:67]// 000000006648: D3D70040 1D02099C
	v_mfma_i32_16x16x32_i8 v[64:67], a[158:159], a[6:7], v[64:67]// 000000006650: D3D70040 1D020D9E
	buffer_load_dwordx4 a[88:91], v40, s[24:27], 0 offen       // 000000006658: E05C1000 80865828
	buffer_load_dwordx4 a[92:95], v40, s[24:27], 0 offen offset:1024// 000000006660: E05C1400 80865C28
	buffer_load_dwordx4 a[96:99], v41, s[24:27], 0 offen       // 000000006668: E05C1000 80866029
	buffer_load_dwordx4 a[100:103], v41, s[24:27], 0 offen offset:1024// 000000006670: E05C1400 80866429
	buffer_load_dwordx4 a[104:107], v42, s[24:27], 0 offen     // 000000006678: E05C1000 8086682A
	buffer_load_dwordx4 a[108:111], v42, s[24:27], 0 offen offset:1024// 000000006680: E05C1400 80866C2A
	buffer_load_dword v35, s[20:23], 0 offen lds               // 000000006688: E0511000 80050023
	s_add_u32 m0, 0x100, s48                                   // 000000006690: 807C30FF 00000100
	buffer_load_dword v36, s[20:23], 0 offen lds               // 000000006698: E0511000 80050024
	s_add_u32 m0, 0, s49                                       // 0000000066A0: 807C3180
	s_waitcnt vmcnt(14)                                        // 0000000066A4: BF8C0F7E
	s_barrier                                                  // 0000000066A8: BF8A0000
	v_mfma_i32_16x16x32_i8 v[68:71], a[16:17], a[0:1], v[68:71]// 0000000066AC: D3D70044 1D120110
	buffer_load_dwordx4 a[112:115], v37, s[84:87], 0 offen     // 0000000066B4: E05C1000 80957025
	v_mfma_i32_16x16x32_i8 v[68:71], a[18:19], a[2:3], v[68:71]// 0000000066BC: D3D70044 1D120512
	v_mfma_i32_16x16x32_i8 v[68:71], a[20:21], a[4:5], v[68:71]// 0000000066C4: D3D70044 1D120914
	ds_read_b128 a[8:11], v2 offset:4352                       // 0000000066CC: DBFE1100 08000002
	ds_read_b128 a[12:15], v2 offset:4416                      // 0000000066D4: DBFE1140 0C000002
	v_mfma_i32_16x16x32_i8 v[68:71], a[22:23], a[6:7], v[68:71]// 0000000066DC: D3D70044 1D120D16
	v_mfma_i32_16x16x32_i8 v[72:75], a[24:25], a[0:1], v[72:75]// 0000000066E4: D3D70048 1D220118
	buffer_load_dwordx4 a[116:119], v37, s[84:87], 0 offen offset:1024// 0000000066EC: E05C1400 80957425
	v_mfma_i32_16x16x32_i8 v[72:75], a[26:27], a[2:3], v[72:75]// 0000000066F4: D3D70048 1D22051A
	v_mfma_i32_16x16x32_i8 v[72:75], a[28:29], a[4:5], v[72:75]// 0000000066FC: D3D70048 1D22091C
	v_mfma_i32_16x16x32_i8 v[72:75], a[30:31], a[6:7], v[72:75]// 000000006704: D3D70048 1D220D1E
	v_mfma_i32_16x16x32_i8 v[76:79], a[32:33], a[0:1], v[76:79]// 00000000670C: D3D7004C 1D320120
	buffer_load_dwordx4 a[120:123], v38, s[84:87], 0 offen     // 000000006714: E05C1000 80957826
	v_mfma_i32_16x16x32_i8 v[76:79], a[34:35], a[2:3], v[76:79]// 00000000671C: D3D7004C 1D320522
	v_mfma_i32_16x16x32_i8 v[76:79], a[36:37], a[4:5], v[76:79]// 000000006724: D3D7004C 1D320924
	v_mfma_i32_16x16x32_i8 v[76:79], a[38:39], a[6:7], v[76:79]// 00000000672C: D3D7004C 1D320D26
	v_mfma_i32_16x16x32_i8 v[80:83], a[40:41], a[0:1], v[80:83]// 000000006734: D3D70050 1D420128
	buffer_load_dwordx4 a[124:127], v38, s[84:87], 0 offen offset:1024// 00000000673C: E05C1400 80957C26
	v_mfma_i32_16x16x32_i8 v[80:83], a[42:43], a[2:3], v[80:83]// 000000006744: D3D70050 1D42052A
	v_mfma_i32_16x16x32_i8 v[80:83], a[44:45], a[4:5], v[80:83]// 00000000674C: D3D70050 1D42092C
	v_mfma_i32_16x16x32_i8 v[80:83], a[46:47], a[6:7], v[80:83]// 000000006754: D3D70050 1D420D2E
	v_mfma_i32_16x16x32_i8 v[84:87], a[48:49], a[0:1], v[84:87]// 00000000675C: D3D70054 1D520130
	buffer_load_dwordx4 a[128:131], v39, s[84:87], 0 offen     // 000000006764: E05C1000 80958027
	s_add_u32 s60, 0x180, s80                                  // 00000000676C: 803C50FF 00000180
	s_cmp_lt_u32 s60, s81                                      // 000000006774: BF0A513C
	s_cselect_b32 s57, s57, 0                                  // 000000006778: 85398039
	v_mfma_i32_16x16x32_i8 v[84:87], a[50:51], a[2:3], v[84:87]// 00000000677C: D3D70054 1D520532
	s_add_u32 s60, 0x100, s80                                  // 000000006784: 803C50FF 00000100
	s_cmp_lt_u32 s60, s81                                      // 00000000678C: BF0A513C
	s_cselect_b32 s58, s58, 0                                  // 000000006790: 853A803A
	v_mfma_i32_16x16x32_i8 v[84:87], a[52:53], a[4:5], v[84:87]// 000000006794: D3D70054 1D520934
	s_add_u32 s60, 0x100, s80                                  // 00000000679C: 803C50FF 00000100
	s_cmp_lt_u32 s60, s81                                      // 0000000067A4: BF0A513C
	s_cselect_b32 s83, s83, 0                                  // 0000000067A8: 85538053
	v_mfma_i32_16x16x32_i8 v[84:87], a[54:55], a[6:7], v[84:87]// 0000000067AC: D3D70054 1D520D36
	s_add_u32 s24, s58, s24                                    // 0000000067B4: 8018183A
	s_addc_u32 s25, 0, s25                                     // 0000000067B8: 82191980
	v_mfma_i32_16x16x32_i8 v[88:91], a[56:57], a[0:1], v[88:91]// 0000000067BC: D3D70058 1D620138
	buffer_load_dwordx4 a[132:135], v39, s[84:87], 0 offen offset:1024// 0000000067C4: E05C1400 80958427
	s_add_u32 s20, s57, s20                                    // 0000000067CC: 80141439
	s_addc_u32 s21, 0, s21                                     // 0000000067D0: 82151580
	v_mfma_i32_16x16x32_i8 v[88:91], a[58:59], a[2:3], v[88:91]// 0000000067D4: D3D70058 1D62053A
	v_mfma_i32_16x16x32_i8 v[88:91], a[60:61], a[4:5], v[88:91]// 0000000067DC: D3D70058 1D62093C
	v_mfma_i32_16x16x32_i8 v[88:91], a[62:63], a[6:7], v[88:91]// 0000000067E4: D3D70058 1D620D3E
	buffer_load_dwordx4 a[136:139], v40, s[84:87], 0 offen     // 0000000067EC: E05C1000 80958828
	buffer_load_dwordx4 a[140:143], v40, s[84:87], 0 offen offset:1024// 0000000067F4: E05C1400 80958C28
	buffer_load_dwordx4 a[144:147], v41, s[84:87], 0 offen     // 0000000067FC: E05C1000 80959029
	buffer_load_dwordx4 a[148:151], v41, s[84:87], 0 offen offset:1024// 000000006804: E05C1400 80959429
	buffer_load_dwordx4 a[152:155], v42, s[84:87], 0 offen     // 00000000680C: E05C1000 8095982A
	buffer_load_dwordx4 a[156:159], v42, s[84:87], 0 offen offset:1024// 000000006814: E05C1400 80959C2A
	s_add_u32 s84, s83, s84                                    // 00000000681C: 80545453
	s_addc_u32 s85, 0, s85                                     // 000000006820: 82555580
	s_addk_i32 s80, 0x80                                       // 000000006824: B7500080
	s_cmp_lt_i32 s80, s81                                      // 000000006828: BF045150
	s_cbranch_scc0 label_0FC3                                  // 00000000682C: BF8400B4
	s_waitcnt vmcnt(14) lgkmcnt(0)                             // 000000006830: BF8C007E
	v_mfma_i32_16x16x32_i8 v[44:47], a[64:65], a[8:9], v[44:47]// 000000006834: D3D7002C 1CB21140
	buffer_load_dwordx4 a[16:19], v37, s[24:27], 0 offen       // 00000000683C: E05C1000 80861025
	v_mfma_i32_16x16x32_i8 v[44:47], a[66:67], a[10:11], v[44:47]// 000000006844: D3D7002C 1CB21542
	v_mfma_i32_16x16x32_i8 v[44:47], a[68:69], a[12:13], v[44:47]// 00000000684C: D3D7002C 1CB21944
	v_mfma_i32_16x16x32_i8 v[44:47], a[70:71], a[14:15], v[44:47]// 000000006854: D3D7002C 1CB21D46
	v_mfma_i32_16x16x32_i8 v[48:51], a[72:73], a[8:9], v[48:51]// 00000000685C: D3D70030 1CC21148
	buffer_load_dwordx4 a[20:23], v37, s[24:27], 0 offen offset:1024// 000000006864: E05C1400 80861425
	v_mfma_i32_16x16x32_i8 v[48:51], a[74:75], a[10:11], v[48:51]// 00000000686C: D3D70030 1CC2154A
	v_mfma_i32_16x16x32_i8 v[48:51], a[76:77], a[12:13], v[48:51]// 000000006874: D3D70030 1CC2194C
	v_mfma_i32_16x16x32_i8 v[48:51], a[78:79], a[14:15], v[48:51]// 00000000687C: D3D70030 1CC21D4E
	v_mfma_i32_16x16x32_i8 v[52:55], a[80:81], a[8:9], v[52:55]// 000000006884: D3D70034 1CD21150
	buffer_load_dwordx4 a[24:27], v38, s[24:27], 0 offen       // 00000000688C: E05C1000 80861826
	v_mfma_i32_16x16x32_i8 v[52:55], a[82:83], a[10:11], v[52:55]// 000000006894: D3D70034 1CD21552
	v_mfma_i32_16x16x32_i8 v[52:55], a[84:85], a[12:13], v[52:55]// 00000000689C: D3D70034 1CD21954
	v_mfma_i32_16x16x32_i8 v[52:55], a[86:87], a[14:15], v[52:55]// 0000000068A4: D3D70034 1CD21D56
	v_mfma_i32_16x16x32_i8 v[56:59], a[88:89], a[8:9], v[56:59]// 0000000068AC: D3D70038 1CE21158
	buffer_load_dwordx4 a[28:31], v38, s[24:27], 0 offen offset:1024// 0000000068B4: E05C1400 80861C26
	v_mfma_i32_16x16x32_i8 v[56:59], a[90:91], a[10:11], v[56:59]// 0000000068BC: D3D70038 1CE2155A
	v_mfma_i32_16x16x32_i8 v[56:59], a[92:93], a[12:13], v[56:59]// 0000000068C4: D3D70038 1CE2195C
	v_mfma_i32_16x16x32_i8 v[56:59], a[94:95], a[14:15], v[56:59]// 0000000068CC: D3D70038 1CE21D5E
	v_mfma_i32_16x16x32_i8 v[60:63], a[96:97], a[8:9], v[60:63]// 0000000068D4: D3D7003C 1CF21160
	buffer_load_dwordx4 a[32:35], v39, s[24:27], 0 offen       // 0000000068DC: E05C1000 80862027
	v_mfma_i32_16x16x32_i8 v[60:63], a[98:99], a[10:11], v[60:63]// 0000000068E4: D3D7003C 1CF21562
	v_mfma_i32_16x16x32_i8 v[60:63], a[100:101], a[12:13], v[60:63]// 0000000068EC: D3D7003C 1CF21964
	v_mfma_i32_16x16x32_i8 v[60:63], a[102:103], a[14:15], v[60:63]// 0000000068F4: D3D7003C 1CF21D66
	v_mfma_i32_16x16x32_i8 v[64:67], a[104:105], a[8:9], v[64:67]// 0000000068FC: D3D70040 1D021168
	buffer_load_dwordx4 a[36:39], v39, s[24:27], 0 offen offset:1024// 000000006904: E05C1400 80862427
	v_mfma_i32_16x16x32_i8 v[64:67], a[106:107], a[10:11], v[64:67]// 00000000690C: D3D70040 1D02156A
	v_mfma_i32_16x16x32_i8 v[64:67], a[108:109], a[12:13], v[64:67]// 000000006914: D3D70040 1D02196C
	v_mfma_i32_16x16x32_i8 v[64:67], a[110:111], a[14:15], v[64:67]// 00000000691C: D3D70040 1D021D6E
	buffer_load_dwordx4 a[40:43], v40, s[24:27], 0 offen       // 000000006924: E05C1000 80862828
	buffer_load_dwordx4 a[44:47], v40, s[24:27], 0 offen offset:1024// 00000000692C: E05C1400 80862C28
	buffer_load_dwordx4 a[48:51], v41, s[24:27], 0 offen       // 000000006934: E05C1000 80863029
	buffer_load_dwordx4 a[52:55], v41, s[24:27], 0 offen offset:1024// 00000000693C: E05C1400 80863429
	buffer_load_dwordx4 a[56:59], v42, s[24:27], 0 offen       // 000000006944: E05C1000 8086382A
	buffer_load_dwordx4 a[60:63], v42, s[24:27], 0 offen offset:1024// 00000000694C: E05C1400 80863C2A
	buffer_load_dword v35, s[20:23], 0 offen lds               // 000000006954: E0511000 80050023
	s_add_u32 m0, 0x100, s49                                   // 00000000695C: 807C31FF 00000100
	buffer_load_dword v36, s[20:23], 0 offen lds               // 000000006964: E0511000 80050024
	s_add_u32 m0, 0, s50                                       // 00000000696C: 807C3280
	s_waitcnt vmcnt(14)                                        // 000000006970: BF8C0F7E
	s_barrier                                                  // 000000006974: BF8A0000
	v_mfma_i32_16x16x32_i8 v[68:71], a[112:113], a[8:9], v[68:71]// 000000006978: D3D70044 1D121170
	buffer_load_dwordx4 a[64:67], v37, s[84:87], 0 offen       // 000000006980: E05C1000 80954025
	v_mfma_i32_16x16x32_i8 v[68:71], a[114:115], a[10:11], v[68:71]// 000000006988: D3D70044 1D121572
	v_mfma_i32_16x16x32_i8 v[68:71], a[116:117], a[12:13], v[68:71]// 000000006990: D3D70044 1D121974
	ds_read_b128 a[0:3], v2                                    // 000000006998: DBFE0000 00000002
	ds_read_b128 a[4:7], v2 offset:64                          // 0000000069A0: DBFE0040 04000002
	v_mfma_i32_16x16x32_i8 v[68:71], a[118:119], a[14:15], v[68:71]// 0000000069A8: D3D70044 1D121D76
	v_mfma_i32_16x16x32_i8 v[72:75], a[120:121], a[8:9], v[72:75]// 0000000069B0: D3D70048 1D221178
	buffer_load_dwordx4 a[68:71], v37, s[84:87], 0 offen offset:1024// 0000000069B8: E05C1400 80954425
	v_mfma_i32_16x16x32_i8 v[72:75], a[122:123], a[10:11], v[72:75]// 0000000069C0: D3D70048 1D22157A
	v_mfma_i32_16x16x32_i8 v[72:75], a[124:125], a[12:13], v[72:75]// 0000000069C8: D3D70048 1D22197C
	v_mfma_i32_16x16x32_i8 v[72:75], a[126:127], a[14:15], v[72:75]// 0000000069D0: D3D70048 1D221D7E
	v_mfma_i32_16x16x32_i8 v[76:79], a[128:129], a[8:9], v[76:79]// 0000000069D8: D3D7004C 1D321180
	buffer_load_dwordx4 a[72:75], v38, s[84:87], 0 offen       // 0000000069E0: E05C1000 80954826
	v_mfma_i32_16x16x32_i8 v[76:79], a[130:131], a[10:11], v[76:79]// 0000000069E8: D3D7004C 1D321582
	v_mfma_i32_16x16x32_i8 v[76:79], a[132:133], a[12:13], v[76:79]// 0000000069F0: D3D7004C 1D321984
	v_mfma_i32_16x16x32_i8 v[76:79], a[134:135], a[14:15], v[76:79]// 0000000069F8: D3D7004C 1D321D86
	v_mfma_i32_16x16x32_i8 v[80:83], a[136:137], a[8:9], v[80:83]// 000000006A00: D3D70050 1D421188
	buffer_load_dwordx4 a[76:79], v38, s[84:87], 0 offen offset:1024// 000000006A08: E05C1400 80954C26
	v_mfma_i32_16x16x32_i8 v[80:83], a[138:139], a[10:11], v[80:83]// 000000006A10: D3D70050 1D42158A
	v_mfma_i32_16x16x32_i8 v[80:83], a[140:141], a[12:13], v[80:83]// 000000006A18: D3D70050 1D42198C
	v_mfma_i32_16x16x32_i8 v[80:83], a[142:143], a[14:15], v[80:83]// 000000006A20: D3D70050 1D421D8E
	v_mfma_i32_16x16x32_i8 v[84:87], a[144:145], a[8:9], v[84:87]// 000000006A28: D3D70054 1D521190
	buffer_load_dwordx4 a[80:83], v39, s[84:87], 0 offen       // 000000006A30: E05C1000 80955027
	s_add_u32 s60, 0x180, s80                                  // 000000006A38: 803C50FF 00000180
	s_cmp_lt_u32 s60, s81                                      // 000000006A40: BF0A513C
	s_cselect_b32 s57, s57, 0                                  // 000000006A44: 85398039
	v_mfma_i32_16x16x32_i8 v[84:87], a[146:147], a[10:11], v[84:87]// 000000006A48: D3D70054 1D521592
	s_add_u32 s60, 0x100, s80                                  // 000000006A50: 803C50FF 00000100
	s_cmp_lt_u32 s60, s81                                      // 000000006A58: BF0A513C
	s_cselect_b32 s58, s58, 0                                  // 000000006A5C: 853A803A
	v_mfma_i32_16x16x32_i8 v[84:87], a[148:149], a[12:13], v[84:87]// 000000006A60: D3D70054 1D521994
	s_add_u32 s60, 0x100, s80                                  // 000000006A68: 803C50FF 00000100
	s_cmp_lt_u32 s60, s81                                      // 000000006A70: BF0A513C
	s_cselect_b32 s83, s83, 0                                  // 000000006A74: 85538053
	v_mfma_i32_16x16x32_i8 v[84:87], a[150:151], a[14:15], v[84:87]// 000000006A78: D3D70054 1D521D96
	s_add_u32 s24, s58, s24                                    // 000000006A80: 8018183A
	s_addc_u32 s25, 0, s25                                     // 000000006A84: 82191980
	v_mfma_i32_16x16x32_i8 v[88:91], a[152:153], a[8:9], v[88:91]// 000000006A88: D3D70058 1D621198
	buffer_load_dwordx4 a[84:87], v39, s[84:87], 0 offen offset:1024// 000000006A90: E05C1400 80955427
	s_add_u32 s20, s57, s20                                    // 000000006A98: 80141439
	s_addc_u32 s21, 0, s21                                     // 000000006A9C: 82151580
	v_mfma_i32_16x16x32_i8 v[88:91], a[154:155], a[10:11], v[88:91]// 000000006AA0: D3D70058 1D62159A
	v_mfma_i32_16x16x32_i8 v[88:91], a[156:157], a[12:13], v[88:91]// 000000006AA8: D3D70058 1D62199C
	v_mfma_i32_16x16x32_i8 v[88:91], a[158:159], a[14:15], v[88:91]// 000000006AB0: D3D70058 1D621D9E
	buffer_load_dwordx4 a[88:91], v40, s[84:87], 0 offen       // 000000006AB8: E05C1000 80955828
	buffer_load_dwordx4 a[92:95], v40, s[84:87], 0 offen offset:1024// 000000006AC0: E05C1400 80955C28
	buffer_load_dwordx4 a[96:99], v41, s[84:87], 0 offen       // 000000006AC8: E05C1000 80956029
	buffer_load_dwordx4 a[100:103], v41, s[84:87], 0 offen offset:1024// 000000006AD0: E05C1400 80956429
	buffer_load_dwordx4 a[104:107], v42, s[84:87], 0 offen     // 000000006AD8: E05C1000 8095682A
	buffer_load_dwordx4 a[108:111], v42, s[84:87], 0 offen offset:1024// 000000006AE0: E05C1400 80956C2A
	s_add_u32 s84, s83, s84                                    // 000000006AE8: 80545453
	s_addc_u32 s85, 0, s85                                     // 000000006AEC: 82555580
	s_addk_i32 s80, 0x80                                       // 000000006AF0: B7500080
	s_cmp_lt_i32 s80, s81                                      // 000000006AF4: BF045150
	s_cbranch_scc0 label_0FC3                                  // 000000006AF8: BF840001
	s_branch label_0B90                                        // 000000006AFC: BF82FBCD

0000000000006b00 <label_0FC3>:
	v_cvt_f32_i32_e32 v44, v44                                 // 000000006B00: 7E580B2C
	v_cvt_f32_i32_e32 v45, v45                                 // 000000006B04: 7E5A0B2D
	v_cvt_f32_i32_e32 v46, v46                                 // 000000006B08: 7E5C0B2E
	v_cvt_f32_i32_e32 v47, v47                                 // 000000006B0C: 7E5E0B2F
	v_mul_f32_dpp v44, v25, v44 row_newbcast:0 row_mask:0xf bank_mask:0xf// 000000006B10: 0A5858FA FF015019
	v_mul_f32_dpp v45, v25, v45 row_newbcast:1 row_mask:0xf bank_mask:0xf// 000000006B18: 0A5A5AFA FF015119
	v_mul_f32_dpp v46, v25, v46 row_newbcast:2 row_mask:0xf bank_mask:0xf// 000000006B20: 0A5C5CFA FF015219
	v_mul_f32_dpp v47, v25, v47 row_newbcast:3 row_mask:0xf bank_mask:0xf// 000000006B28: 0A5E5EFA FF015319
	v_cvt_f32_i32_e32 v48, v48                                 // 000000006B30: 7E600B30
	v_cvt_f32_i32_e32 v49, v49                                 // 000000006B34: 7E620B31
	v_cvt_f32_i32_e32 v50, v50                                 // 000000006B38: 7E640B32
	v_cvt_f32_i32_e32 v51, v51                                 // 000000006B3C: 7E660B33
	v_mul_f32_dpp v48, v25, v48 row_newbcast:4 row_mask:0xf bank_mask:0xf// 000000006B40: 0A6060FA FF015419
	v_mul_f32_dpp v49, v25, v49 row_newbcast:5 row_mask:0xf bank_mask:0xf// 000000006B48: 0A6262FA FF015519
	v_mul_f32_dpp v50, v25, v50 row_newbcast:6 row_mask:0xf bank_mask:0xf// 000000006B50: 0A6464FA FF015619
	v_mul_f32_dpp v51, v25, v51 row_newbcast:7 row_mask:0xf bank_mask:0xf// 000000006B58: 0A6666FA FF015719
	v_cvt_f32_i32_e32 v52, v52                                 // 000000006B60: 7E680B34
	v_cvt_f32_i32_e32 v53, v53                                 // 000000006B64: 7E6A0B35
	v_cvt_f32_i32_e32 v54, v54                                 // 000000006B68: 7E6C0B36
	v_cvt_f32_i32_e32 v55, v55                                 // 000000006B6C: 7E6E0B37
	v_mul_f32_dpp v52, v25, v52 row_newbcast:8 row_mask:0xf bank_mask:0xf// 000000006B70: 0A6868FA FF015819
	v_mul_f32_dpp v53, v25, v53 row_newbcast:9 row_mask:0xf bank_mask:0xf// 000000006B78: 0A6A6AFA FF015919
	v_mul_f32_dpp v54, v25, v54 row_newbcast:10 row_mask:0xf bank_mask:0xf// 000000006B80: 0A6C6CFA FF015A19
	v_mul_f32_dpp v55, v25, v55 row_newbcast:11 row_mask:0xf bank_mask:0xf// 000000006B88: 0A6E6EFA FF015B19
	v_cvt_f32_i32_e32 v56, v56                                 // 000000006B90: 7E700B38
	v_cvt_f32_i32_e32 v57, v57                                 // 000000006B94: 7E720B39
	v_cvt_f32_i32_e32 v58, v58                                 // 000000006B98: 7E740B3A
	v_cvt_f32_i32_e32 v59, v59                                 // 000000006B9C: 7E760B3B
	v_mul_f32_dpp v56, v25, v56 row_newbcast:12 row_mask:0xf bank_mask:0xf// 000000006BA0: 0A7070FA FF015C19
	v_mul_f32_dpp v57, v25, v57 row_newbcast:13 row_mask:0xf bank_mask:0xf// 000000006BA8: 0A7272FA FF015D19
	v_mul_f32_dpp v58, v25, v58 row_newbcast:14 row_mask:0xf bank_mask:0xf// 000000006BB0: 0A7474FA FF015E19
	v_mul_f32_dpp v59, v25, v59 row_newbcast:15 row_mask:0xf bank_mask:0xf// 000000006BB8: 0A7676FA FF015F19
	v_cvt_f32_i32_e32 v60, v60                                 // 000000006BC0: 7E780B3C
	v_cvt_f32_i32_e32 v61, v61                                 // 000000006BC4: 7E7A0B3D
	v_cvt_f32_i32_e32 v62, v62                                 // 000000006BC8: 7E7C0B3E
	v_cvt_f32_i32_e32 v63, v63                                 // 000000006BCC: 7E7E0B3F
	v_mul_f32_dpp v60, v26, v60 row_newbcast:0 row_mask:0xf bank_mask:0xf// 000000006BD0: 0A7878FA FF01501A
	v_mul_f32_dpp v61, v26, v61 row_newbcast:1 row_mask:0xf bank_mask:0xf// 000000006BD8: 0A7A7AFA FF01511A
	v_mul_f32_dpp v62, v26, v62 row_newbcast:2 row_mask:0xf bank_mask:0xf// 000000006BE0: 0A7C7CFA FF01521A
	v_mul_f32_dpp v63, v26, v63 row_newbcast:3 row_mask:0xf bank_mask:0xf// 000000006BE8: 0A7E7EFA FF01531A
	v_cvt_f32_i32_e32 v64, v64                                 // 000000006BF0: 7E800B40
	v_cvt_f32_i32_e32 v65, v65                                 // 000000006BF4: 7E820B41
	v_cvt_f32_i32_e32 v66, v66                                 // 000000006BF8: 7E840B42
	v_cvt_f32_i32_e32 v67, v67                                 // 000000006BFC: 7E860B43
	v_mul_f32_dpp v64, v26, v64 row_newbcast:4 row_mask:0xf bank_mask:0xf// 000000006C00: 0A8080FA FF01541A
	v_mul_f32_dpp v65, v26, v65 row_newbcast:5 row_mask:0xf bank_mask:0xf// 000000006C08: 0A8282FA FF01551A
	v_mul_f32_dpp v66, v26, v66 row_newbcast:6 row_mask:0xf bank_mask:0xf// 000000006C10: 0A8484FA FF01561A
	v_mul_f32_dpp v67, v26, v67 row_newbcast:7 row_mask:0xf bank_mask:0xf// 000000006C18: 0A8686FA FF01571A
	v_cvt_f32_i32_e32 v68, v68                                 // 000000006C20: 7E880B44
	v_cvt_f32_i32_e32 v69, v69                                 // 000000006C24: 7E8A0B45
	v_cvt_f32_i32_e32 v70, v70                                 // 000000006C28: 7E8C0B46
	v_cvt_f32_i32_e32 v71, v71                                 // 000000006C2C: 7E8E0B47
	v_mul_f32_dpp v68, v28, v68 row_newbcast:0 row_mask:0xf bank_mask:0xf// 000000006C30: 0A8888FA FF01501C
	v_mul_f32_dpp v69, v28, v69 row_newbcast:1 row_mask:0xf bank_mask:0xf// 000000006C38: 0A8A8AFA FF01511C
	v_mul_f32_dpp v70, v28, v70 row_newbcast:2 row_mask:0xf bank_mask:0xf// 000000006C40: 0A8C8CFA FF01521C
	v_mul_f32_dpp v71, v28, v71 row_newbcast:3 row_mask:0xf bank_mask:0xf// 000000006C48: 0A8E8EFA FF01531C
	v_cvt_f32_i32_e32 v72, v72                                 // 000000006C50: 7E900B48
	v_cvt_f32_i32_e32 v73, v73                                 // 000000006C54: 7E920B49
	v_cvt_f32_i32_e32 v74, v74                                 // 000000006C58: 7E940B4A
	v_cvt_f32_i32_e32 v75, v75                                 // 000000006C5C: 7E960B4B
	v_mul_f32_dpp v72, v28, v72 row_newbcast:4 row_mask:0xf bank_mask:0xf// 000000006C60: 0A9090FA FF01541C
	v_mul_f32_dpp v73, v28, v73 row_newbcast:5 row_mask:0xf bank_mask:0xf// 000000006C68: 0A9292FA FF01551C
	v_mul_f32_dpp v74, v28, v74 row_newbcast:6 row_mask:0xf bank_mask:0xf// 000000006C70: 0A9494FA FF01561C
	v_mul_f32_dpp v75, v28, v75 row_newbcast:7 row_mask:0xf bank_mask:0xf// 000000006C78: 0A9696FA FF01571C
	v_cvt_f32_i32_e32 v76, v76                                 // 000000006C80: 7E980B4C
	v_cvt_f32_i32_e32 v77, v77                                 // 000000006C84: 7E9A0B4D
	v_cvt_f32_i32_e32 v78, v78                                 // 000000006C88: 7E9C0B4E
	v_cvt_f32_i32_e32 v79, v79                                 // 000000006C8C: 7E9E0B4F
	v_mul_f32_dpp v76, v28, v76 row_newbcast:8 row_mask:0xf bank_mask:0xf// 000000006C90: 0A9898FA FF01581C
	v_mul_f32_dpp v77, v28, v77 row_newbcast:9 row_mask:0xf bank_mask:0xf// 000000006C98: 0A9A9AFA FF01591C
	v_mul_f32_dpp v78, v28, v78 row_newbcast:10 row_mask:0xf bank_mask:0xf// 000000006CA0: 0A9C9CFA FF015A1C
	v_mul_f32_dpp v79, v28, v79 row_newbcast:11 row_mask:0xf bank_mask:0xf// 000000006CA8: 0A9E9EFA FF015B1C
	v_cvt_f32_i32_e32 v80, v80                                 // 000000006CB0: 7EA00B50
	v_cvt_f32_i32_e32 v81, v81                                 // 000000006CB4: 7EA20B51
	v_cvt_f32_i32_e32 v82, v82                                 // 000000006CB8: 7EA40B52
	v_cvt_f32_i32_e32 v83, v83                                 // 000000006CBC: 7EA60B53
	v_mul_f32_dpp v80, v28, v80 row_newbcast:12 row_mask:0xf bank_mask:0xf// 000000006CC0: 0AA0A0FA FF015C1C
	v_mul_f32_dpp v81, v28, v81 row_newbcast:13 row_mask:0xf bank_mask:0xf// 000000006CC8: 0AA2A2FA FF015D1C
	v_mul_f32_dpp v82, v28, v82 row_newbcast:14 row_mask:0xf bank_mask:0xf// 000000006CD0: 0AA4A4FA FF015E1C
	v_mul_f32_dpp v83, v28, v83 row_newbcast:15 row_mask:0xf bank_mask:0xf// 000000006CD8: 0AA6A6FA FF015F1C
	v_cvt_f32_i32_e32 v84, v84                                 // 000000006CE0: 7EA80B54
	v_cvt_f32_i32_e32 v85, v85                                 // 000000006CE4: 7EAA0B55
	v_cvt_f32_i32_e32 v86, v86                                 // 000000006CE8: 7EAC0B56
	v_cvt_f32_i32_e32 v87, v87                                 // 000000006CEC: 7EAE0B57
	v_mul_f32_dpp v84, v29, v84 row_newbcast:0 row_mask:0xf bank_mask:0xf// 000000006CF0: 0AA8A8FA FF01501D
	v_mul_f32_dpp v85, v29, v85 row_newbcast:1 row_mask:0xf bank_mask:0xf// 000000006CF8: 0AAAAAFA FF01511D
	v_mul_f32_dpp v86, v29, v86 row_newbcast:2 row_mask:0xf bank_mask:0xf// 000000006D00: 0AACACFA FF01521D
	v_mul_f32_dpp v87, v29, v87 row_newbcast:3 row_mask:0xf bank_mask:0xf// 000000006D08: 0AAEAEFA FF01531D
	v_cvt_f32_i32_e32 v88, v88                                 // 000000006D10: 7EB00B58
	v_cvt_f32_i32_e32 v89, v89                                 // 000000006D14: 7EB20B59
	v_cvt_f32_i32_e32 v90, v90                                 // 000000006D18: 7EB40B5A
	v_cvt_f32_i32_e32 v91, v91                                 // 000000006D1C: 7EB60B5B
	v_mul_f32_dpp v88, v29, v88 row_newbcast:4 row_mask:0xf bank_mask:0xf// 000000006D20: 0AB0B0FA FF01541D
	v_mul_f32_dpp v89, v29, v89 row_newbcast:5 row_mask:0xf bank_mask:0xf// 000000006D28: 0AB2B2FA FF01551D
	v_mul_f32_dpp v90, v29, v90 row_newbcast:6 row_mask:0xf bank_mask:0xf// 000000006D30: 0AB4B4FA FF01561D
	v_mul_f32_dpp v91, v29, v91 row_newbcast:7 row_mask:0xf bank_mask:0xf// 000000006D38: 0AB6B6FA FF01571D
	v_mov_b32_e32 v4, v32                                      // 000000006D40: 7E080320
	v_mov_b32_e32 v5, v4                                       // 000000006D44: 7E0A0304
	v_pk_mul_f32 v[44:45], v[4:5], v[44:45]                    // 000000006D48: D3B1402C 18025904
	v_pk_mul_f32 v[68:69], v[4:5], v[68:69]                    // 000000006D50: D3B14044 18028904
	v_pk_mul_f32 v[46:47], v[4:5], v[46:47]                    // 000000006D58: D3B1402E 18025D04
	v_pk_mul_f32 v[70:71], v[4:5], v[70:71]                    // 000000006D60: D3B14046 18028D04
	v_pk_mul_f32 v[48:49], v[4:5], v[48:49]                    // 000000006D68: D3B14030 18026104
	v_pk_mul_f32 v[72:73], v[4:5], v[72:73]                    // 000000006D70: D3B14048 18029104
	v_pk_mul_f32 v[50:51], v[4:5], v[50:51]                    // 000000006D78: D3B14032 18026504
	v_pk_mul_f32 v[74:75], v[4:5], v[74:75]                    // 000000006D80: D3B1404A 18029504
	v_pk_mul_f32 v[52:53], v[4:5], v[52:53]                    // 000000006D88: D3B14034 18026904
	v_pk_mul_f32 v[76:77], v[4:5], v[76:77]                    // 000000006D90: D3B1404C 18029904
	v_pk_mul_f32 v[54:55], v[4:5], v[54:55]                    // 000000006D98: D3B14036 18026D04
	v_pk_mul_f32 v[78:79], v[4:5], v[78:79]                    // 000000006DA0: D3B1404E 18029D04
	v_pk_mul_f32 v[56:57], v[4:5], v[56:57]                    // 000000006DA8: D3B14038 18027104
	v_pk_mul_f32 v[80:81], v[4:5], v[80:81]                    // 000000006DB0: D3B14050 1802A104
	v_pk_mul_f32 v[58:59], v[4:5], v[58:59]                    // 000000006DB8: D3B1403A 18027504
	v_pk_mul_f32 v[82:83], v[4:5], v[82:83]                    // 000000006DC0: D3B14052 1802A504
	v_pk_mul_f32 v[60:61], v[4:5], v[60:61]                    // 000000006DC8: D3B1403C 18027904
	v_pk_mul_f32 v[84:85], v[4:5], v[84:85]                    // 000000006DD0: D3B14054 1802A904
	v_pk_mul_f32 v[62:63], v[4:5], v[62:63]                    // 000000006DD8: D3B1403E 18027D04
	v_pk_mul_f32 v[86:87], v[4:5], v[86:87]                    // 000000006DE0: D3B14056 1802AD04
	v_pk_mul_f32 v[64:65], v[4:5], v[64:65]                    // 000000006DE8: D3B14040 18028104
	v_pk_mul_f32 v[88:89], v[4:5], v[88:89]                    // 000000006DF0: D3B14058 1802B104
	v_pk_mul_f32 v[66:67], v[4:5], v[66:67]                    // 000000006DF8: D3B14042 18028504
	v_pk_mul_f32 v[90:91], v[4:5], v[90:91]                    // 000000006E00: D3B1405A 1802B504
	s_cmp_eq_u32 s88, 0                                        // 000000006E08: BF068058
	s_cbranch_scc0 label_1388                                  // 000000006E0C: BF840301
	s_cmp_eq_u32 s89, 0                                        // 000000006E10: BF068059
	s_cbranch_scc1 label_117E                                  // 000000006E14: BF8500F5
	v_mov_b32_e32 v8, v1                                       // 000000006E18: 7E100301
	v_mov_b32_e32 v9, v1                                       // 000000006E1C: 7E120301
	s_mov_b32 s60, s6                                          // 000000006E20: BEBC0006
	s_mov_b32 s61, s6                                          // 000000006E24: BEBD0006
	v_pk_mul_f32 v[4:5], v[44:45], v[44:45]                    // 000000006E28: D3B14004 1802592C
	v_pk_mul_f32 v[6:7], v[46:47], v[46:47]                    // 000000006E30: D3B14006 18025D2E
	v_pk_fma_f32 v[4:5], v[4:5], s[78:79], v[8:9]              // 000000006E38: D3B04004 1C209D04
	v_pk_fma_f32 v[6:7], v[6:7], s[78:79], v[8:9]              // 000000006E40: D3B04006 1C209D06
	v_pk_mul_f32 v[4:5], v[4:5], v[44:45]                      // 000000006E48: D3B14004 18025904
	v_pk_mul_f32 v[6:7], v[6:7], v[46:47]                      // 000000006E50: D3B14006 18025D06
	v_pk_mul_f32 v[4:5], v[4:5], s[60:61]                      // 000000006E58: D3B14004 18007904
	v_pk_mul_f32 v[6:7], v[6:7], s[60:61]                      // 000000006E60: D3B14006 18007906
	v_exp_f32_e32 v4, v4                                       // 000000006E68: 7E084104
	v_exp_f32_e32 v5, v5                                       // 000000006E6C: 7E0A4105
	v_exp_f32_e32 v6, v6                                       // 000000006E70: 7E0C4106
	v_exp_f32_e32 v7, v7                                       // 000000006E74: 7E0E4107
	v_add_f32_e64 v4, v4, 1.0                                  // 000000006E78: D1010004 0001E504
	v_add_f32_e64 v5, v5, 1.0                                  // 000000006E80: D1010005 0001E505
	v_add_f32_e64 v6, v6, 1.0                                  // 000000006E88: D1010006 0001E506
	v_add_f32_e64 v7, v7, 1.0                                  // 000000006E90: D1010007 0001E507
	v_rcp_f32_e32 v4, v4                                       // 000000006E98: 7E084504
	v_rcp_f32_e32 v5, v5                                       // 000000006E9C: 7E0A4505
	v_rcp_f32_e32 v6, v6                                       // 000000006EA0: 7E0C4506
	v_rcp_f32_e32 v7, v7                                       // 000000006EA4: 7E0E4507
	v_mul_f32_e32 v44, v44, v4                                 // 000000006EA8: 0A58092C
	v_mul_f32_e32 v45, v45, v5                                 // 000000006EAC: 0A5A0B2D
	v_mul_f32_e32 v46, v46, v6                                 // 000000006EB0: 0A5C0D2E
	v_mul_f32_e32 v47, v47, v7                                 // 000000006EB4: 0A5E0F2F
	v_mul_f32_e32 v44, v44, v68                                // 000000006EB8: 0A58892C
	v_mul_f32_e32 v45, v45, v69                                // 000000006EBC: 0A5A8B2D
	v_mul_f32_e32 v46, v46, v70                                // 000000006EC0: 0A5C8D2E
	v_mul_f32_e32 v47, v47, v71                                // 000000006EC4: 0A5E8F2F
	v_pk_mul_f32 v[4:5], v[48:49], v[48:49]                    // 000000006EC8: D3B14004 18026130
	v_pk_mul_f32 v[6:7], v[50:51], v[50:51]                    // 000000006ED0: D3B14006 18026532
	v_pk_fma_f32 v[4:5], v[4:5], s[78:79], v[8:9]              // 000000006ED8: D3B04004 1C209D04
	v_pk_fma_f32 v[6:7], v[6:7], s[78:79], v[8:9]              // 000000006EE0: D3B04006 1C209D06
	v_pk_mul_f32 v[4:5], v[4:5], v[48:49]                      // 000000006EE8: D3B14004 18026104
	v_pk_mul_f32 v[6:7], v[6:7], v[50:51]                      // 000000006EF0: D3B14006 18026506
	v_pk_mul_f32 v[4:5], v[4:5], s[60:61]                      // 000000006EF8: D3B14004 18007904
	v_pk_mul_f32 v[6:7], v[6:7], s[60:61]                      // 000000006F00: D3B14006 18007906
	v_exp_f32_e32 v4, v4                                       // 000000006F08: 7E084104
	v_exp_f32_e32 v5, v5                                       // 000000006F0C: 7E0A4105
	v_exp_f32_e32 v6, v6                                       // 000000006F10: 7E0C4106
	v_exp_f32_e32 v7, v7                                       // 000000006F14: 7E0E4107
	v_add_f32_e64 v4, v4, 1.0                                  // 000000006F18: D1010004 0001E504
	v_add_f32_e64 v5, v5, 1.0                                  // 000000006F20: D1010005 0001E505
	v_add_f32_e64 v6, v6, 1.0                                  // 000000006F28: D1010006 0001E506
	v_add_f32_e64 v7, v7, 1.0                                  // 000000006F30: D1010007 0001E507
	v_rcp_f32_e32 v4, v4                                       // 000000006F38: 7E084504
	v_rcp_f32_e32 v5, v5                                       // 000000006F3C: 7E0A4505
	v_rcp_f32_e32 v6, v6                                       // 000000006F40: 7E0C4506
	v_rcp_f32_e32 v7, v7                                       // 000000006F44: 7E0E4507
	v_mul_f32_e32 v48, v48, v4                                 // 000000006F48: 0A600930
	v_mul_f32_e32 v49, v49, v5                                 // 000000006F4C: 0A620B31
	v_mul_f32_e32 v50, v50, v6                                 // 000000006F50: 0A640D32
	v_mul_f32_e32 v51, v51, v7                                 // 000000006F54: 0A660F33
	v_mul_f32_e32 v48, v48, v72                                // 000000006F58: 0A609130
	v_mul_f32_e32 v49, v49, v73                                // 000000006F5C: 0A629331
	v_mul_f32_e32 v50, v50, v74                                // 000000006F60: 0A649532
	v_mul_f32_e32 v51, v51, v75                                // 000000006F64: 0A669733
	v_pk_mul_f32 v[4:5], v[52:53], v[52:53]                    // 000000006F68: D3B14004 18026934
	v_pk_mul_f32 v[6:7], v[54:55], v[54:55]                    // 000000006F70: D3B14006 18026D36
	v_pk_fma_f32 v[4:5], v[4:5], s[78:79], v[8:9]              // 000000006F78: D3B04004 1C209D04
	v_pk_fma_f32 v[6:7], v[6:7], s[78:79], v[8:9]              // 000000006F80: D3B04006 1C209D06
	v_pk_mul_f32 v[4:5], v[4:5], v[52:53]                      // 000000006F88: D3B14004 18026904
	v_pk_mul_f32 v[6:7], v[6:7], v[54:55]                      // 000000006F90: D3B14006 18026D06
	v_pk_mul_f32 v[4:5], v[4:5], s[60:61]                      // 000000006F98: D3B14004 18007904
	v_pk_mul_f32 v[6:7], v[6:7], s[60:61]                      // 000000006FA0: D3B14006 18007906
	v_exp_f32_e32 v4, v4                                       // 000000006FA8: 7E084104
	v_exp_f32_e32 v5, v5                                       // 000000006FAC: 7E0A4105
	v_exp_f32_e32 v6, v6                                       // 000000006FB0: 7E0C4106
	v_exp_f32_e32 v7, v7                                       // 000000006FB4: 7E0E4107
	v_add_f32_e64 v4, v4, 1.0                                  // 000000006FB8: D1010004 0001E504
	v_add_f32_e64 v5, v5, 1.0                                  // 000000006FC0: D1010005 0001E505
	v_add_f32_e64 v6, v6, 1.0                                  // 000000006FC8: D1010006 0001E506
	v_add_f32_e64 v7, v7, 1.0                                  // 000000006FD0: D1010007 0001E507
	v_rcp_f32_e32 v4, v4                                       // 000000006FD8: 7E084504
	v_rcp_f32_e32 v5, v5                                       // 000000006FDC: 7E0A4505
	v_rcp_f32_e32 v6, v6                                       // 000000006FE0: 7E0C4506
	v_rcp_f32_e32 v7, v7                                       // 000000006FE4: 7E0E4507
	v_mul_f32_e32 v52, v52, v4                                 // 000000006FE8: 0A680934
	v_mul_f32_e32 v53, v53, v5                                 // 000000006FEC: 0A6A0B35
	v_mul_f32_e32 v54, v54, v6                                 // 000000006FF0: 0A6C0D36
	v_mul_f32_e32 v55, v55, v7                                 // 000000006FF4: 0A6E0F37
	v_mul_f32_e32 v52, v52, v76                                // 000000006FF8: 0A689934
	v_mul_f32_e32 v53, v53, v77                                // 000000006FFC: 0A6A9B35
	v_mul_f32_e32 v54, v54, v78                                // 000000007000: 0A6C9D36
	v_mul_f32_e32 v55, v55, v79                                // 000000007004: 0A6E9F37
	v_pk_mul_f32 v[4:5], v[56:57], v[56:57]                    // 000000007008: D3B14004 18027138
	v_pk_mul_f32 v[6:7], v[58:59], v[58:59]                    // 000000007010: D3B14006 1802753A
	v_pk_fma_f32 v[4:5], v[4:5], s[78:79], v[8:9]              // 000000007018: D3B04004 1C209D04
	v_pk_fma_f32 v[6:7], v[6:7], s[78:79], v[8:9]              // 000000007020: D3B04006 1C209D06
	v_pk_mul_f32 v[4:5], v[4:5], v[56:57]                      // 000000007028: D3B14004 18027104
	v_pk_mul_f32 v[6:7], v[6:7], v[58:59]                      // 000000007030: D3B14006 18027506
	v_pk_mul_f32 v[4:5], v[4:5], s[60:61]                      // 000000007038: D3B14004 18007904
	v_pk_mul_f32 v[6:7], v[6:7], s[60:61]                      // 000000007040: D3B14006 18007906
	v_exp_f32_e32 v4, v4                                       // 000000007048: 7E084104
	v_exp_f32_e32 v5, v5                                       // 00000000704C: 7E0A4105
	v_exp_f32_e32 v6, v6                                       // 000000007050: 7E0C4106
	v_exp_f32_e32 v7, v7                                       // 000000007054: 7E0E4107
	v_add_f32_e64 v4, v4, 1.0                                  // 000000007058: D1010004 0001E504
	v_add_f32_e64 v5, v5, 1.0                                  // 000000007060: D1010005 0001E505
	v_add_f32_e64 v6, v6, 1.0                                  // 000000007068: D1010006 0001E506
	v_add_f32_e64 v7, v7, 1.0                                  // 000000007070: D1010007 0001E507
	v_rcp_f32_e32 v4, v4                                       // 000000007078: 7E084504
	v_rcp_f32_e32 v5, v5                                       // 00000000707C: 7E0A4505
	v_rcp_f32_e32 v6, v6                                       // 000000007080: 7E0C4506
	v_rcp_f32_e32 v7, v7                                       // 000000007084: 7E0E4507
	v_mul_f32_e32 v56, v56, v4                                 // 000000007088: 0A700938
	v_mul_f32_e32 v57, v57, v5                                 // 00000000708C: 0A720B39
	v_mul_f32_e32 v58, v58, v6                                 // 000000007090: 0A740D3A
	v_mul_f32_e32 v59, v59, v7                                 // 000000007094: 0A760F3B
	v_mul_f32_e32 v56, v56, v80                                // 000000007098: 0A70A138
	v_mul_f32_e32 v57, v57, v81                                // 00000000709C: 0A72A339
	v_mul_f32_e32 v58, v58, v82                                // 0000000070A0: 0A74A53A
	v_mul_f32_e32 v59, v59, v83                                // 0000000070A4: 0A76A73B
	v_pk_mul_f32 v[4:5], v[60:61], v[60:61]                    // 0000000070A8: D3B14004 1802793C
	v_pk_mul_f32 v[6:7], v[62:63], v[62:63]                    // 0000000070B0: D3B14006 18027D3E
	v_pk_fma_f32 v[4:5], v[4:5], s[78:79], v[8:9]              // 0000000070B8: D3B04004 1C209D04
	v_pk_fma_f32 v[6:7], v[6:7], s[78:79], v[8:9]              // 0000000070C0: D3B04006 1C209D06
	v_pk_mul_f32 v[4:5], v[4:5], v[60:61]                      // 0000000070C8: D3B14004 18027904
	v_pk_mul_f32 v[6:7], v[6:7], v[62:63]                      // 0000000070D0: D3B14006 18027D06
	v_pk_mul_f32 v[4:5], v[4:5], s[60:61]                      // 0000000070D8: D3B14004 18007904
	v_pk_mul_f32 v[6:7], v[6:7], s[60:61]                      // 0000000070E0: D3B14006 18007906
	v_exp_f32_e32 v4, v4                                       // 0000000070E8: 7E084104
	v_exp_f32_e32 v5, v5                                       // 0000000070EC: 7E0A4105
	v_exp_f32_e32 v6, v6                                       // 0000000070F0: 7E0C4106
	v_exp_f32_e32 v7, v7                                       // 0000000070F4: 7E0E4107
	v_add_f32_e64 v4, v4, 1.0                                  // 0000000070F8: D1010004 0001E504
	v_add_f32_e64 v5, v5, 1.0                                  // 000000007100: D1010005 0001E505
	v_add_f32_e64 v6, v6, 1.0                                  // 000000007108: D1010006 0001E506
	v_add_f32_e64 v7, v7, 1.0                                  // 000000007110: D1010007 0001E507
	v_rcp_f32_e32 v4, v4                                       // 000000007118: 7E084504
	v_rcp_f32_e32 v5, v5                                       // 00000000711C: 7E0A4505
	v_rcp_f32_e32 v6, v6                                       // 000000007120: 7E0C4506
	v_rcp_f32_e32 v7, v7                                       // 000000007124: 7E0E4507
	v_mul_f32_e32 v60, v60, v4                                 // 000000007128: 0A78093C
	v_mul_f32_e32 v61, v61, v5                                 // 00000000712C: 0A7A0B3D
	v_mul_f32_e32 v62, v62, v6                                 // 000000007130: 0A7C0D3E
	v_mul_f32_e32 v63, v63, v7                                 // 000000007134: 0A7E0F3F
	v_mul_f32_e32 v60, v60, v84                                // 000000007138: 0A78A93C
	v_mul_f32_e32 v61, v61, v85                                // 00000000713C: 0A7AAB3D
	v_mul_f32_e32 v62, v62, v86                                // 000000007140: 0A7CAD3E
	v_mul_f32_e32 v63, v63, v87                                // 000000007144: 0A7EAF3F
	v_pk_mul_f32 v[4:5], v[64:65], v[64:65]                    // 000000007148: D3B14004 18028140
	v_pk_mul_f32 v[6:7], v[66:67], v[66:67]                    // 000000007150: D3B14006 18028542
	v_pk_fma_f32 v[4:5], v[4:5], s[78:79], v[8:9]              // 000000007158: D3B04004 1C209D04
	v_pk_fma_f32 v[6:7], v[6:7], s[78:79], v[8:9]              // 000000007160: D3B04006 1C209D06
	v_pk_mul_f32 v[4:5], v[4:5], v[64:65]                      // 000000007168: D3B14004 18028104
	v_pk_mul_f32 v[6:7], v[6:7], v[66:67]                      // 000000007170: D3B14006 18028506
	v_pk_mul_f32 v[4:5], v[4:5], s[60:61]                      // 000000007178: D3B14004 18007904
	v_pk_mul_f32 v[6:7], v[6:7], s[60:61]                      // 000000007180: D3B14006 18007906
	v_exp_f32_e32 v4, v4                                       // 000000007188: 7E084104
	v_exp_f32_e32 v5, v5                                       // 00000000718C: 7E0A4105
	v_exp_f32_e32 v6, v6                                       // 000000007190: 7E0C4106
	v_exp_f32_e32 v7, v7                                       // 000000007194: 7E0E4107
	v_add_f32_e64 v4, v4, 1.0                                  // 000000007198: D1010004 0001E504
	v_add_f32_e64 v5, v5, 1.0                                  // 0000000071A0: D1010005 0001E505
	v_add_f32_e64 v6, v6, 1.0                                  // 0000000071A8: D1010006 0001E506
	v_add_f32_e64 v7, v7, 1.0                                  // 0000000071B0: D1010007 0001E507
	v_rcp_f32_e32 v4, v4                                       // 0000000071B8: 7E084504
	v_rcp_f32_e32 v5, v5                                       // 0000000071BC: 7E0A4505
	v_rcp_f32_e32 v6, v6                                       // 0000000071C0: 7E0C4506
	v_rcp_f32_e32 v7, v7                                       // 0000000071C4: 7E0E4507
	v_mul_f32_e32 v64, v64, v4                                 // 0000000071C8: 0A800940
	v_mul_f32_e32 v65, v65, v5                                 // 0000000071CC: 0A820B41
	v_mul_f32_e32 v66, v66, v6                                 // 0000000071D0: 0A840D42
	v_mul_f32_e32 v67, v67, v7                                 // 0000000071D4: 0A860F43
	v_mul_f32_e32 v64, v64, v88                                // 0000000071D8: 0A80B140
	v_mul_f32_e32 v65, v65, v89                                // 0000000071DC: 0A82B341
	v_mul_f32_e32 v66, v66, v90                                // 0000000071E0: 0A84B542
	v_mul_f32_e32 v67, v67, v91                                // 0000000071E4: 0A86B743
	s_branch label_123E                                        // 0000000071E8: BF8200C0

00000000000071ec <label_117E>:
	v_mul_f32_e64 v4, -v44, s6                                 // 0000000071EC: D1050004 20000D2C
	v_mul_f32_e64 v5, -v45, s6                                 // 0000000071F4: D1050005 20000D2D
	v_mul_f32_e64 v6, -v46, s6                                 // 0000000071FC: D1050006 20000D2E
	v_mul_f32_e64 v7, -v47, s6                                 // 000000007204: D1050007 20000D2F
	v_exp_f32_e32 v4, v4                                       // 00000000720C: 7E084104
	v_exp_f32_e32 v5, v5                                       // 000000007210: 7E0A4105
	v_exp_f32_e32 v6, v6                                       // 000000007214: 7E0C4106
	v_exp_f32_e32 v7, v7                                       // 000000007218: 7E0E4107
	v_add_f32_e64 v4, v4, 1.0                                  // 00000000721C: D1010004 0001E504
	v_add_f32_e64 v5, v5, 1.0                                  // 000000007224: D1010005 0001E505
	v_add_f32_e64 v6, v6, 1.0                                  // 00000000722C: D1010006 0001E506
	v_add_f32_e64 v7, v7, 1.0                                  // 000000007234: D1010007 0001E507
	v_rcp_f32_e32 v4, v4                                       // 00000000723C: 7E084504
	v_rcp_f32_e32 v5, v5                                       // 000000007240: 7E0A4505
	v_rcp_f32_e32 v6, v6                                       // 000000007244: 7E0C4506
	v_rcp_f32_e32 v7, v7                                       // 000000007248: 7E0E4507
	v_mul_f32_e32 v44, v44, v4                                 // 00000000724C: 0A58092C
	v_mul_f32_e32 v45, v45, v5                                 // 000000007250: 0A5A0B2D
	v_mul_f32_e32 v46, v46, v6                                 // 000000007254: 0A5C0D2E
	v_mul_f32_e32 v47, v47, v7                                 // 000000007258: 0A5E0F2F
	v_mul_f32_e32 v44, v44, v68                                // 00000000725C: 0A58892C
	v_mul_f32_e32 v45, v45, v69                                // 000000007260: 0A5A8B2D
	v_mul_f32_e32 v46, v46, v70                                // 000000007264: 0A5C8D2E
	v_mul_f32_e32 v47, v47, v71                                // 000000007268: 0A5E8F2F
	v_mul_f32_e64 v4, -v48, s6                                 // 00000000726C: D1050004 20000D30
	v_mul_f32_e64 v5, -v49, s6                                 // 000000007274: D1050005 20000D31
	v_mul_f32_e64 v6, -v50, s6                                 // 00000000727C: D1050006 20000D32
	v_mul_f32_e64 v7, -v51, s6                                 // 000000007284: D1050007 20000D33
	v_exp_f32_e32 v4, v4                                       // 00000000728C: 7E084104
	v_exp_f32_e32 v5, v5                                       // 000000007290: 7E0A4105
	v_exp_f32_e32 v6, v6                                       // 000000007294: 7E0C4106
	v_exp_f32_e32 v7, v7                                       // 000000007298: 7E0E4107
	v_add_f32_e64 v4, v4, 1.0                                  // 00000000729C: D1010004 0001E504
	v_add_f32_e64 v5, v5, 1.0                                  // 0000000072A4: D1010005 0001E505
	v_add_f32_e64 v6, v6, 1.0                                  // 0000000072AC: D1010006 0001E506
	v_add_f32_e64 v7, v7, 1.0                                  // 0000000072B4: D1010007 0001E507
	v_rcp_f32_e32 v4, v4                                       // 0000000072BC: 7E084504
	v_rcp_f32_e32 v5, v5                                       // 0000000072C0: 7E0A4505
	v_rcp_f32_e32 v6, v6                                       // 0000000072C4: 7E0C4506
	v_rcp_f32_e32 v7, v7                                       // 0000000072C8: 7E0E4507
	v_mul_f32_e32 v48, v48, v4                                 // 0000000072CC: 0A600930
	v_mul_f32_e32 v49, v49, v5                                 // 0000000072D0: 0A620B31
	v_mul_f32_e32 v50, v50, v6                                 // 0000000072D4: 0A640D32
	v_mul_f32_e32 v51, v51, v7                                 // 0000000072D8: 0A660F33
	v_mul_f32_e32 v48, v48, v72                                // 0000000072DC: 0A609130
	v_mul_f32_e32 v49, v49, v73                                // 0000000072E0: 0A629331
	v_mul_f32_e32 v50, v50, v74                                // 0000000072E4: 0A649532
	v_mul_f32_e32 v51, v51, v75                                // 0000000072E8: 0A669733
	v_mul_f32_e64 v4, -v52, s6                                 // 0000000072EC: D1050004 20000D34
	v_mul_f32_e64 v5, -v53, s6                                 // 0000000072F4: D1050005 20000D35
	v_mul_f32_e64 v6, -v54, s6                                 // 0000000072FC: D1050006 20000D36
	v_mul_f32_e64 v7, -v55, s6                                 // 000000007304: D1050007 20000D37
	v_exp_f32_e32 v4, v4                                       // 00000000730C: 7E084104
	v_exp_f32_e32 v5, v5                                       // 000000007310: 7E0A4105
	v_exp_f32_e32 v6, v6                                       // 000000007314: 7E0C4106
	v_exp_f32_e32 v7, v7                                       // 000000007318: 7E0E4107
	v_add_f32_e64 v4, v4, 1.0                                  // 00000000731C: D1010004 0001E504
	v_add_f32_e64 v5, v5, 1.0                                  // 000000007324: D1010005 0001E505
	v_add_f32_e64 v6, v6, 1.0                                  // 00000000732C: D1010006 0001E506
	v_add_f32_e64 v7, v7, 1.0                                  // 000000007334: D1010007 0001E507
	v_rcp_f32_e32 v4, v4                                       // 00000000733C: 7E084504
	v_rcp_f32_e32 v5, v5                                       // 000000007340: 7E0A4505
	v_rcp_f32_e32 v6, v6                                       // 000000007344: 7E0C4506
	v_rcp_f32_e32 v7, v7                                       // 000000007348: 7E0E4507
	v_mul_f32_e32 v52, v52, v4                                 // 00000000734C: 0A680934
	v_mul_f32_e32 v53, v53, v5                                 // 000000007350: 0A6A0B35
	v_mul_f32_e32 v54, v54, v6                                 // 000000007354: 0A6C0D36
	v_mul_f32_e32 v55, v55, v7                                 // 000000007358: 0A6E0F37
	v_mul_f32_e32 v52, v52, v76                                // 00000000735C: 0A689934
	v_mul_f32_e32 v53, v53, v77                                // 000000007360: 0A6A9B35
	v_mul_f32_e32 v54, v54, v78                                // 000000007364: 0A6C9D36
	v_mul_f32_e32 v55, v55, v79                                // 000000007368: 0A6E9F37
	v_mul_f32_e64 v4, -v56, s6                                 // 00000000736C: D1050004 20000D38
	v_mul_f32_e64 v5, -v57, s6                                 // 000000007374: D1050005 20000D39
	v_mul_f32_e64 v6, -v58, s6                                 // 00000000737C: D1050006 20000D3A
	v_mul_f32_e64 v7, -v59, s6                                 // 000000007384: D1050007 20000D3B
	v_exp_f32_e32 v4, v4                                       // 00000000738C: 7E084104
	v_exp_f32_e32 v5, v5                                       // 000000007390: 7E0A4105
	v_exp_f32_e32 v6, v6                                       // 000000007394: 7E0C4106
	v_exp_f32_e32 v7, v7                                       // 000000007398: 7E0E4107
	v_add_f32_e64 v4, v4, 1.0                                  // 00000000739C: D1010004 0001E504
	v_add_f32_e64 v5, v5, 1.0                                  // 0000000073A4: D1010005 0001E505
	v_add_f32_e64 v6, v6, 1.0                                  // 0000000073AC: D1010006 0001E506
	v_add_f32_e64 v7, v7, 1.0                                  // 0000000073B4: D1010007 0001E507
	v_rcp_f32_e32 v4, v4                                       // 0000000073BC: 7E084504
	v_rcp_f32_e32 v5, v5                                       // 0000000073C0: 7E0A4505
	v_rcp_f32_e32 v6, v6                                       // 0000000073C4: 7E0C4506
	v_rcp_f32_e32 v7, v7                                       // 0000000073C8: 7E0E4507
	v_mul_f32_e32 v56, v56, v4                                 // 0000000073CC: 0A700938
	v_mul_f32_e32 v57, v57, v5                                 // 0000000073D0: 0A720B39
	v_mul_f32_e32 v58, v58, v6                                 // 0000000073D4: 0A740D3A
	v_mul_f32_e32 v59, v59, v7                                 // 0000000073D8: 0A760F3B
	v_mul_f32_e32 v56, v56, v80                                // 0000000073DC: 0A70A138
	v_mul_f32_e32 v57, v57, v81                                // 0000000073E0: 0A72A339
	v_mul_f32_e32 v58, v58, v82                                // 0000000073E4: 0A74A53A
	v_mul_f32_e32 v59, v59, v83                                // 0000000073E8: 0A76A73B
	v_mul_f32_e64 v4, -v60, s6                                 // 0000000073EC: D1050004 20000D3C
	v_mul_f32_e64 v5, -v61, s6                                 // 0000000073F4: D1050005 20000D3D
	v_mul_f32_e64 v6, -v62, s6                                 // 0000000073FC: D1050006 20000D3E
	v_mul_f32_e64 v7, -v63, s6                                 // 000000007404: D1050007 20000D3F
	v_exp_f32_e32 v4, v4                                       // 00000000740C: 7E084104
	v_exp_f32_e32 v5, v5                                       // 000000007410: 7E0A4105
	v_exp_f32_e32 v6, v6                                       // 000000007414: 7E0C4106
	v_exp_f32_e32 v7, v7                                       // 000000007418: 7E0E4107
	v_add_f32_e64 v4, v4, 1.0                                  // 00000000741C: D1010004 0001E504
	v_add_f32_e64 v5, v5, 1.0                                  // 000000007424: D1010005 0001E505
	v_add_f32_e64 v6, v6, 1.0                                  // 00000000742C: D1010006 0001E506
	v_add_f32_e64 v7, v7, 1.0                                  // 000000007434: D1010007 0001E507
	v_rcp_f32_e32 v4, v4                                       // 00000000743C: 7E084504
	v_rcp_f32_e32 v5, v5                                       // 000000007440: 7E0A4505
	v_rcp_f32_e32 v6, v6                                       // 000000007444: 7E0C4506
	v_rcp_f32_e32 v7, v7                                       // 000000007448: 7E0E4507
	v_mul_f32_e32 v60, v60, v4                                 // 00000000744C: 0A78093C
	v_mul_f32_e32 v61, v61, v5                                 // 000000007450: 0A7A0B3D
	v_mul_f32_e32 v62, v62, v6                                 // 000000007454: 0A7C0D3E
	v_mul_f32_e32 v63, v63, v7                                 // 000000007458: 0A7E0F3F
	v_mul_f32_e32 v60, v60, v84                                // 00000000745C: 0A78A93C
	v_mul_f32_e32 v61, v61, v85                                // 000000007460: 0A7AAB3D
	v_mul_f32_e32 v62, v62, v86                                // 000000007464: 0A7CAD3E
	v_mul_f32_e32 v63, v63, v87                                // 000000007468: 0A7EAF3F
	v_mul_f32_e64 v4, -v64, s6                                 // 00000000746C: D1050004 20000D40
	v_mul_f32_e64 v5, -v65, s6                                 // 000000007474: D1050005 20000D41
	v_mul_f32_e64 v6, -v66, s6                                 // 00000000747C: D1050006 20000D42
	v_mul_f32_e64 v7, -v67, s6                                 // 000000007484: D1050007 20000D43
	v_exp_f32_e32 v4, v4                                       // 00000000748C: 7E084104
	v_exp_f32_e32 v5, v5                                       // 000000007490: 7E0A4105
	v_exp_f32_e32 v6, v6                                       // 000000007494: 7E0C4106
	v_exp_f32_e32 v7, v7                                       // 000000007498: 7E0E4107
	v_add_f32_e64 v4, v4, 1.0                                  // 00000000749C: D1010004 0001E504
	v_add_f32_e64 v5, v5, 1.0                                  // 0000000074A4: D1010005 0001E505
	v_add_f32_e64 v6, v6, 1.0                                  // 0000000074AC: D1010006 0001E506
	v_add_f32_e64 v7, v7, 1.0                                  // 0000000074B4: D1010007 0001E507
	v_rcp_f32_e32 v4, v4                                       // 0000000074BC: 7E084504
	v_rcp_f32_e32 v5, v5                                       // 0000000074C0: 7E0A4505
	v_rcp_f32_e32 v6, v6                                       // 0000000074C4: 7E0C4506
	v_rcp_f32_e32 v7, v7                                       // 0000000074C8: 7E0E4507
	v_mul_f32_e32 v64, v64, v4                                 // 0000000074CC: 0A800940
	v_mul_f32_e32 v65, v65, v5                                 // 0000000074D0: 0A820B41
	v_mul_f32_e32 v66, v66, v6                                 // 0000000074D4: 0A840D42
	v_mul_f32_e32 v67, v67, v7                                 // 0000000074D8: 0A860F43
	v_mul_f32_e32 v64, v64, v88                                // 0000000074DC: 0A80B140
	v_mul_f32_e32 v65, v65, v89                                // 0000000074E0: 0A82B341
	v_mul_f32_e32 v66, v66, v90                                // 0000000074E4: 0A84B542
	v_mul_f32_e32 v67, v67, v91                                // 0000000074E8: 0A86B743

00000000000074ec <label_123E>:
	v_cmp_u_f32_e64 s[46:47], v44, v44                         // 0000000074EC: D048002E 0002592C
	v_add3_u32 v16, v44, v19, 1                                // 0000000074F4: D1FF0010 0206272C
	v_cndmask_b32_e64 v4, v16, v18, s[46:47]                   // 0000000074FC: D1000004 00BA2510
	v_cmp_u_f32_e64 s[46:47], v45, v45                         // 000000007504: D048002E 00025B2D
	v_add3_u32 v16, v45, v19, 1                                // 00000000750C: D1FF0010 0206272D
	v_cndmask_b32_e64 v5, v16, v18, s[46:47]                   // 000000007514: D1000005 00BA2510
	v_perm_b32 v44, v5, v4, s52                                // 00000000751C: D1ED002C 00D20905
	v_cmp_u_f32_e64 s[46:47], v46, v46                         // 000000007524: D048002E 00025D2E
	v_add3_u32 v16, v46, v19, 1                                // 00000000752C: D1FF0010 0206272E
	v_cndmask_b32_e64 v4, v16, v18, s[46:47]                   // 000000007534: D1000004 00BA2510
	v_cmp_u_f32_e64 s[46:47], v47, v47                         // 00000000753C: D048002E 00025F2F
	v_add3_u32 v16, v47, v19, 1                                // 000000007544: D1FF0010 0206272F
	v_cndmask_b32_e64 v5, v16, v18, s[46:47]                   // 00000000754C: D1000005 00BA2510
	v_perm_b32 v45, v5, v4, s52                                // 000000007554: D1ED002D 00D20905
	v_cmp_u_f32_e64 s[46:47], v48, v48                         // 00000000755C: D048002E 00026130
	v_add3_u32 v16, v48, v19, 1                                // 000000007564: D1FF0010 02062730
	v_cndmask_b32_e64 v4, v16, v18, s[46:47]                   // 00000000756C: D1000004 00BA2510
	v_cmp_u_f32_e64 s[46:47], v49, v49                         // 000000007574: D048002E 00026331
	v_add3_u32 v16, v49, v19, 1                                // 00000000757C: D1FF0010 02062731
	v_cndmask_b32_e64 v5, v16, v18, s[46:47]                   // 000000007584: D1000005 00BA2510
	v_perm_b32 v46, v5, v4, s52                                // 00000000758C: D1ED002E 00D20905
	v_cmp_u_f32_e64 s[46:47], v50, v50                         // 000000007594: D048002E 00026532
	v_add3_u32 v16, v50, v19, 1                                // 00000000759C: D1FF0010 02062732
	v_cndmask_b32_e64 v4, v16, v18, s[46:47]                   // 0000000075A4: D1000004 00BA2510
	v_cmp_u_f32_e64 s[46:47], v51, v51                         // 0000000075AC: D048002E 00026733
	v_add3_u32 v16, v51, v19, 1                                // 0000000075B4: D1FF0010 02062733
	v_cndmask_b32_e64 v5, v16, v18, s[46:47]                   // 0000000075BC: D1000005 00BA2510
	v_perm_b32 v47, v5, v4, s52                                // 0000000075C4: D1ED002F 00D20905
	v_cmp_u_f32_e64 s[46:47], v52, v52                         // 0000000075CC: D048002E 00026934
	v_add3_u32 v16, v52, v19, 1                                // 0000000075D4: D1FF0010 02062734
	v_cndmask_b32_e64 v4, v16, v18, s[46:47]                   // 0000000075DC: D1000004 00BA2510
	v_cmp_u_f32_e64 s[46:47], v53, v53                         // 0000000075E4: D048002E 00026B35
	v_add3_u32 v16, v53, v19, 1                                // 0000000075EC: D1FF0010 02062735
	v_cndmask_b32_e64 v5, v16, v18, s[46:47]                   // 0000000075F4: D1000005 00BA2510
	v_perm_b32 v48, v5, v4, s52                                // 0000000075FC: D1ED0030 00D20905
	v_cmp_u_f32_e64 s[46:47], v54, v54                         // 000000007604: D048002E 00026D36
	v_add3_u32 v16, v54, v19, 1                                // 00000000760C: D1FF0010 02062736
	v_cndmask_b32_e64 v4, v16, v18, s[46:47]                   // 000000007614: D1000004 00BA2510
	v_cmp_u_f32_e64 s[46:47], v55, v55                         // 00000000761C: D048002E 00026F37
	v_add3_u32 v16, v55, v19, 1                                // 000000007624: D1FF0010 02062737
	v_cndmask_b32_e64 v5, v16, v18, s[46:47]                   // 00000000762C: D1000005 00BA2510
	v_perm_b32 v49, v5, v4, s52                                // 000000007634: D1ED0031 00D20905
	v_cmp_u_f32_e64 s[46:47], v56, v56                         // 00000000763C: D048002E 00027138
	v_add3_u32 v16, v56, v19, 1                                // 000000007644: D1FF0010 02062738
	v_cndmask_b32_e64 v4, v16, v18, s[46:47]                   // 00000000764C: D1000004 00BA2510
	v_cmp_u_f32_e64 s[46:47], v57, v57                         // 000000007654: D048002E 00027339
	v_add3_u32 v16, v57, v19, 1                                // 00000000765C: D1FF0010 02062739
	v_cndmask_b32_e64 v5, v16, v18, s[46:47]                   // 000000007664: D1000005 00BA2510
	v_perm_b32 v50, v5, v4, s52                                // 00000000766C: D1ED0032 00D20905
	v_cmp_u_f32_e64 s[46:47], v58, v58                         // 000000007674: D048002E 0002753A
	v_add3_u32 v16, v58, v19, 1                                // 00000000767C: D1FF0010 0206273A
	v_cndmask_b32_e64 v4, v16, v18, s[46:47]                   // 000000007684: D1000004 00BA2510
	v_cmp_u_f32_e64 s[46:47], v59, v59                         // 00000000768C: D048002E 0002773B
	v_add3_u32 v16, v59, v19, 1                                // 000000007694: D1FF0010 0206273B
	v_cndmask_b32_e64 v5, v16, v18, s[46:47]                   // 00000000769C: D1000005 00BA2510
	v_perm_b32 v51, v5, v4, s52                                // 0000000076A4: D1ED0033 00D20905
	v_cmp_u_f32_e64 s[46:47], v60, v60                         // 0000000076AC: D048002E 0002793C
	v_add3_u32 v16, v60, v19, 1                                // 0000000076B4: D1FF0010 0206273C
	v_cndmask_b32_e64 v4, v16, v18, s[46:47]                   // 0000000076BC: D1000004 00BA2510
	v_cmp_u_f32_e64 s[46:47], v61, v61                         // 0000000076C4: D048002E 00027B3D
	v_add3_u32 v16, v61, v19, 1                                // 0000000076CC: D1FF0010 0206273D
	v_cndmask_b32_e64 v5, v16, v18, s[46:47]                   // 0000000076D4: D1000005 00BA2510
	v_perm_b32 v52, v5, v4, s52                                // 0000000076DC: D1ED0034 00D20905
	v_cmp_u_f32_e64 s[46:47], v62, v62                         // 0000000076E4: D048002E 00027D3E
	v_add3_u32 v16, v62, v19, 1                                // 0000000076EC: D1FF0010 0206273E
	v_cndmask_b32_e64 v4, v16, v18, s[46:47]                   // 0000000076F4: D1000004 00BA2510
	v_cmp_u_f32_e64 s[46:47], v63, v63                         // 0000000076FC: D048002E 00027F3F
	v_add3_u32 v16, v63, v19, 1                                // 000000007704: D1FF0010 0206273F
	v_cndmask_b32_e64 v5, v16, v18, s[46:47]                   // 00000000770C: D1000005 00BA2510
	v_perm_b32 v53, v5, v4, s52                                // 000000007714: D1ED0035 00D20905
	v_cmp_u_f32_e64 s[46:47], v64, v64                         // 00000000771C: D048002E 00028140
	v_add3_u32 v16, v64, v19, 1                                // 000000007724: D1FF0010 02062740
	v_cndmask_b32_e64 v4, v16, v18, s[46:47]                   // 00000000772C: D1000004 00BA2510
	v_cmp_u_f32_e64 s[46:47], v65, v65                         // 000000007734: D048002E 00028341
	v_add3_u32 v16, v65, v19, 1                                // 00000000773C: D1FF0010 02062741
	v_cndmask_b32_e64 v5, v16, v18, s[46:47]                   // 000000007744: D1000005 00BA2510
	v_perm_b32 v54, v5, v4, s52                                // 00000000774C: D1ED0036 00D20905
	v_cmp_u_f32_e64 s[46:47], v66, v66                         // 000000007754: D048002E 00028542
	v_add3_u32 v16, v66, v19, 1                                // 00000000775C: D1FF0010 02062742
	v_cndmask_b32_e64 v4, v16, v18, s[46:47]                   // 000000007764: D1000004 00BA2510
	v_cmp_u_f32_e64 s[46:47], v67, v67                         // 00000000776C: D048002E 00028743
	v_add3_u32 v16, v67, v19, 1                                // 000000007774: D1FF0010 02062743
	v_cndmask_b32_e64 v5, v16, v18, s[46:47]                   // 00000000777C: D1000005 00BA2510
	v_perm_b32 v55, v5, v4, s52                                // 000000007784: D1ED0037 00D20905
	ds_write_b64 v20, v[44:45]                                 // 00000000778C: D89A0000 00002C14
	ds_write_b64 v20, v[46:47] offset:2176                     // 000000007794: D89A0880 00002E14
	ds_write_b64 v20, v[48:49] offset:4352                     // 00000000779C: D89A1100 00003014
	ds_write_b64 v20, v[50:51] offset:6528                     // 0000000077A4: D89A1980 00003214
	ds_write_b64 v20, v[52:53] offset:8704                     // 0000000077AC: D89A2200 00003414
	ds_write_b64 v20, v[54:55] offset:10880                    // 0000000077B4: D89A2A80 00003614
	v_lshrrev_b32_e32 v4, 5, v0                                // 0000000077BC: 20080085
	v_xor_b32_e32 v5, 1, v4                                    // 0000000077C0: 2A0A0881
	s_mul_i32 s60, s65, 2                                      // 0000000077C4: 923C8241
	s_cmp_eq_u32 s88, 0                                        // 0000000077C8: BF068058
	s_cselect_b32 s61, 1, 4                                    // 0000000077CC: 853D8481
	s_mul_i32 s60, s61, s60                                    // 0000000077D0: 923C3C3D
	v_readlane_b32 s82, v3, 0                                  // 0000000077D4: D2890052 00010103
	s_lshr_b32 s61, s82, 24                                    // 0000000077DC: 8F3D9852
	s_and_b32 s82, s82, 0xffffff                               // 0000000077E0: 8652FF52 00FFFFFF
	s_mul_i32 s82, s82, s71                                    // 0000000077E8: 92524752
	s_mul_i32 s61, s60, s61                                    // 0000000077EC: 923D3D3C
	s_add_u32 s82, s82, s61                                    // 0000000077F0: 80523D52
	v_mul_lo_u32 v6, v5, s82                                   // 0000000077F4: D2850006 0000A505
	v_readlane_b32 s82, v3, 1                                  // 0000000077FC: D2890052 00010303
	s_lshr_b32 s61, s82, 24                                    // 000000007804: 8F3D9852
	s_and_b32 s82, s82, 0xffffff                               // 000000007808: 8652FF52 00FFFFFF
	s_mul_i32 s82, s82, s71                                    // 000000007810: 92524752
	s_mul_i32 s61, s60, s61                                    // 000000007814: 923D3D3C
	s_add_u32 s82, s82, s61                                    // 000000007818: 80523D52
	v_mul_lo_u32 v7, v4, s82                                   // 00000000781C: D2850007 0000A504
	v_add_u32_e32 v35, v6, v7                                  // 000000007824: 68460F06
	v_readlane_b32 s82, v3, 2                                  // 000000007828: D2890052 00010503
	s_lshr_b32 s61, s82, 24                                    // 000000007830: 8F3D9852
	s_and_b32 s82, s82, 0xffffff                               // 000000007834: 8652FF52 00FFFFFF
	s_mul_i32 s82, s82, s71                                    // 00000000783C: 92524752
	s_mul_i32 s61, s60, s61                                    // 000000007840: 923D3D3C
	s_add_u32 s82, s82, s61                                    // 000000007844: 80523D52
	v_mul_lo_u32 v6, v5, s82                                   // 000000007848: D2850006 0000A505
	v_readlane_b32 s82, v3, 3                                  // 000000007850: D2890052 00010703
	s_lshr_b32 s61, s82, 24                                    // 000000007858: 8F3D9852
	s_and_b32 s82, s82, 0xffffff                               // 00000000785C: 8652FF52 00FFFFFF
	s_mul_i32 s82, s82, s71                                    // 000000007864: 92524752
	s_mul_i32 s61, s60, s61                                    // 000000007868: 923D3D3C
	s_add_u32 s82, s82, s61                                    // 00000000786C: 80523D52
	v_mul_lo_u32 v7, v4, s82                                   // 000000007870: D2850007 0000A504
	v_add_u32_e32 v36, v6, v7                                  // 000000007878: 68480F06
	v_and_b32_e32 v4, 31, v0                                   // 00000000787C: 2608009F
	v_lshrrev_b32_e32 v4, 1, v4                                // 000000007880: 20080881
	s_cmp_eq_u32 s88, 0                                        // 000000007884: BF068058
	s_cselect_b32 s61, 2, 4                                    // 000000007888: 853D8482
	v_mul_lo_u32 v4, v4, s61                                   // 00000000788C: D2850004 00007B04
	v_and_b32_e64 v5, v0, 1                                    // 000000007894: D1130005 00010300
	v_add_u32_e32 v4, v4, v5                                   // 00000000789C: 68080B04
	v_lshlrev_b32_e32 v4, 2, v4                                // 0000000078A0: 24080882
	v_add_u32_e32 v35, v35, v4                                 // 0000000078A4: 68460923
	v_add_u32_e32 v36, v36, v4                                 // 0000000078A8: 68480924
	s_waitcnt lgkmcnt(0)                                       // 0000000078AC: BF8CC07F
	s_barrier                                                  // 0000000078B0: BF8A0000
	ds_read_b32 v44, v21                                       // 0000000078B4: D86C0000 2C000015
	ds_read_b32 v45, v21 offset:64                             // 0000000078BC: D86C0040 2D000015
	ds_read_b32 v46, v21 offset:2176                           // 0000000078C4: D86C0880 2E000015
	ds_read_b32 v47, v21 offset:2240                           // 0000000078CC: D86C08C0 2F000015
	ds_read_b32 v48, v21 offset:4352                           // 0000000078D4: D86C1100 30000015
	ds_read_b32 v49, v21 offset:4416                           // 0000000078DC: D86C1140 31000015
	ds_read_b32 v50, v21 offset:6528                           // 0000000078E4: D86C1980 32000015
	ds_read_b32 v51, v21 offset:6592                           // 0000000078EC: D86C19C0 33000015
	ds_read_b32 v52, v21 offset:8704                           // 0000000078F4: D86C2200 34000015
	ds_read_b32 v53, v21 offset:8768                           // 0000000078FC: D86C2240 35000015
	ds_read_b32 v54, v21 offset:10880                          // 000000007904: D86C2A80 36000015
	ds_read_b32 v55, v21 offset:10944                          // 00000000790C: D86C2AC0 37000015
	s_waitcnt lgkmcnt(0)                                       // 000000007914: BF8CC07F
	s_mov_b32 s36, -1                                          // 000000007918: BEA400C1
	s_mov_b32 s37, -1                                          // 00000000791C: BEA500C1
	v_mov_b32_e32 v7, 0                                        // 000000007920: 7E0E0280
	s_or_b32 s9, s9, 0x40000                                   // 000000007924: 8709FF09 00040000
	s_mov_b64 exec, s[36:37]                                   // 00000000792C: BEFE0124
	v_mov_b32_e32 v6, v35                                      // 000000007930: 7E0C0323
	s_mov_b64 s[60:61], 0                                      // 000000007934: BEBC0180
	v_readlane_b32 s82, v3, 0                                  // 000000007938: D2890052 00010103
	s_and_b32 s82, s82, 0xffffff                               // 000000007940: 8652FF52 00FFFFFF
	s_cmp_lt_u32 s82, s66                                      // 000000007948: BF0A4252
	s_cselect_b32 s20, s36, s60                                // 00000000794C: 85143C24
	v_readlane_b32 s82, v3, 1                                  // 000000007950: D2890052 00010303
	s_and_b32 s82, s82, 0xffffff                               // 000000007958: 8652FF52 00FFFFFF
	s_cmp_lt_u32 s82, s66                                      // 000000007960: BF0A4252
	s_cselect_b32 s21, s36, s60                                // 000000007964: 85153C24
	s_mov_b64 exec, s[20:21]                                   // 000000007968: BEFE0114
	buffer_store_dword v44, v6, s[8:11], 0 offen               // 00000000796C: E0701000 80022C06
	buffer_store_dword v46, v6, s[8:11], 0 offen offset:128    // 000000007974: E0701080 80022E06
	buffer_store_dword v48, v6, s[8:11], 0 offen offset:256    // 00000000797C: E0701100 80023006
	buffer_store_dword v50, v6, s[8:11], 0 offen offset:384    // 000000007984: E0701180 80023206
	buffer_store_dword v52, v6, s[8:11], 0 offen offset:512    // 00000000798C: E0701200 80023406
	buffer_store_dword v54, v6, s[8:11], 0 offen offset:640    // 000000007994: E0701280 80023606
	s_mov_b64 exec, s[36:37]                                   // 00000000799C: BEFE0124
	v_mov_b32_e32 v6, v36                                      // 0000000079A0: 7E0C0324
	s_mov_b64 s[60:61], 0                                      // 0000000079A4: BEBC0180
	v_readlane_b32 s82, v3, 2                                  // 0000000079A8: D2890052 00010503
	s_and_b32 s82, s82, 0xffffff                               // 0000000079B0: 8652FF52 00FFFFFF
	s_cmp_lt_u32 s82, s66                                      // 0000000079B8: BF0A4252
	s_cselect_b32 s20, s36, s60                                // 0000000079BC: 85143C24
	v_readlane_b32 s82, v3, 3                                  // 0000000079C0: D2890052 00010703
	s_and_b32 s82, s82, 0xffffff                               // 0000000079C8: 8652FF52 00FFFFFF
	s_cmp_lt_u32 s82, s66                                      // 0000000079D0: BF0A4252
	s_cselect_b32 s21, s36, s60                                // 0000000079D4: 85153C24
	s_mov_b64 exec, s[20:21]                                   // 0000000079D8: BEFE0114
	buffer_store_dword v45, v6, s[8:11], 0 offen               // 0000000079DC: E0701000 80022D06
	buffer_store_dword v47, v6, s[8:11], 0 offen offset:128    // 0000000079E4: E0701080 80022F06
	buffer_store_dword v49, v6, s[8:11], 0 offen offset:256    // 0000000079EC: E0701100 80023106
	buffer_store_dword v51, v6, s[8:11], 0 offen offset:384    // 0000000079F4: E0701180 80023306
	buffer_store_dword v53, v6, s[8:11], 0 offen offset:512    // 0000000079FC: E0701200 80023506
	buffer_store_dword v55, v6, s[8:11], 0 offen offset:640    // 000000007A04: E0701280 80023706
	s_mov_b64 exec, s[36:37]                                   // 000000007A0C: BEFE0124
	s_branch label_154E                                        // 000000007A10: BF8201C6

0000000000007a14 <label_1388>:
	ds_write_b64 v20, v[44:45]                                 // 000000007A14: D89A0000 00002C14
	ds_write_b64 v20, v[48:49] offset:2176                     // 000000007A1C: D89A0880 00003014
	ds_write_b64 v20, v[52:53] offset:4352                     // 000000007A24: D89A1100 00003414
	ds_write_b64 v20, v[56:57] offset:6528                     // 000000007A2C: D89A1980 00003814
	ds_write_b64 v20, v[60:61] offset:8704                     // 000000007A34: D89A2200 00003C14
	ds_write_b64 v20, v[64:65] offset:10880                    // 000000007A3C: D89A2A80 00004014
	v_lshrrev_b32_e32 v4, 5, v0                                // 000000007A44: 20080085
	v_xor_b32_e32 v5, 1, v4                                    // 000000007A48: 2A0A0881
	s_mul_i32 s60, s65, 2                                      // 000000007A4C: 923C8241
	s_cmp_eq_u32 s88, 0                                        // 000000007A50: BF068058
	s_cselect_b32 s61, 1, 4                                    // 000000007A54: 853D8481
	s_mul_i32 s60, s61, s60                                    // 000000007A58: 923C3C3D
	v_readlane_b32 s82, v3, 0                                  // 000000007A5C: D2890052 00010103
	s_lshr_b32 s61, s82, 24                                    // 000000007A64: 8F3D9852
	s_and_b32 s82, s82, 0xffffff                               // 000000007A68: 8652FF52 00FFFFFF
	s_mul_i32 s82, s82, s71                                    // 000000007A70: 92524752
	s_mul_i32 s61, s60, s61                                    // 000000007A74: 923D3D3C
	s_add_u32 s82, s82, s61                                    // 000000007A78: 80523D52
	v_mul_lo_u32 v6, v5, s82                                   // 000000007A7C: D2850006 0000A505
	v_readlane_b32 s82, v3, 1                                  // 000000007A84: D2890052 00010303
	s_lshr_b32 s61, s82, 24                                    // 000000007A8C: 8F3D9852
	s_and_b32 s82, s82, 0xffffff                               // 000000007A90: 8652FF52 00FFFFFF
	s_mul_i32 s82, s82, s71                                    // 000000007A98: 92524752
	s_mul_i32 s61, s60, s61                                    // 000000007A9C: 923D3D3C
	s_add_u32 s82, s82, s61                                    // 000000007AA0: 80523D52
	v_mul_lo_u32 v7, v4, s82                                   // 000000007AA4: D2850007 0000A504
	v_add_u32_e32 v35, v6, v7                                  // 000000007AAC: 68460F06
	v_readlane_b32 s82, v3, 2                                  // 000000007AB0: D2890052 00010503
	s_lshr_b32 s61, s82, 24                                    // 000000007AB8: 8F3D9852
	s_and_b32 s82, s82, 0xffffff                               // 000000007ABC: 8652FF52 00FFFFFF
	s_mul_i32 s82, s82, s71                                    // 000000007AC4: 92524752
	s_mul_i32 s61, s60, s61                                    // 000000007AC8: 923D3D3C
	s_add_u32 s82, s82, s61                                    // 000000007ACC: 80523D52
	v_mul_lo_u32 v6, v5, s82                                   // 000000007AD0: D2850006 0000A505
	v_readlane_b32 s82, v3, 3                                  // 000000007AD8: D2890052 00010703
	s_lshr_b32 s61, s82, 24                                    // 000000007AE0: 8F3D9852
	s_and_b32 s82, s82, 0xffffff                               // 000000007AE4: 8652FF52 00FFFFFF
	s_mul_i32 s82, s82, s71                                    // 000000007AEC: 92524752
	s_mul_i32 s61, s60, s61                                    // 000000007AF0: 923D3D3C
	s_add_u32 s82, s82, s61                                    // 000000007AF4: 80523D52
	v_mul_lo_u32 v7, v4, s82                                   // 000000007AF8: D2850007 0000A504
	v_add_u32_e32 v36, v6, v7                                  // 000000007B00: 68480F06
	v_and_b32_e32 v4, 31, v0                                   // 000000007B04: 2608009F
	v_lshrrev_b32_e32 v4, 1, v4                                // 000000007B08: 20080881
	s_cmp_eq_u32 s88, 0                                        // 000000007B0C: BF068058
	s_cselect_b32 s61, 2, 4                                    // 000000007B10: 853D8482
	v_mul_lo_u32 v4, v4, s61                                   // 000000007B14: D2850004 00007B04
	v_and_b32_e64 v5, v0, 1                                    // 000000007B1C: D1130005 00010300
	v_add_u32_e32 v4, v4, v5                                   // 000000007B24: 68080B04
	v_lshlrev_b32_e32 v4, 2, v4                                // 000000007B28: 24080882
	v_add_u32_e32 v35, v35, v4                                 // 000000007B2C: 68460923
	v_add_u32_e32 v36, v36, v4                                 // 000000007B30: 68480924
	s_waitcnt lgkmcnt(0)                                       // 000000007B34: BF8CC07F
	s_barrier                                                  // 000000007B38: BF8A0000
	ds_read_b32 v44, v21                                       // 000000007B3C: D86C0000 2C000015
	ds_read_b32 v45, v21 offset:64                             // 000000007B44: D86C0040 2D000015
	ds_read_b32 v48, v21 offset:2176                           // 000000007B4C: D86C0880 30000015
	ds_read_b32 v49, v21 offset:2240                           // 000000007B54: D86C08C0 31000015
	ds_read_b32 v52, v21 offset:4352                           // 000000007B5C: D86C1100 34000015
	ds_read_b32 v53, v21 offset:4416                           // 000000007B64: D86C1140 35000015
	ds_read_b32 v56, v21 offset:6528                           // 000000007B6C: D86C1980 38000015
	ds_read_b32 v57, v21 offset:6592                           // 000000007B74: D86C19C0 39000015
	ds_read_b32 v60, v21 offset:8704                           // 000000007B7C: D86C2200 3C000015
	ds_read_b32 v61, v21 offset:8768                           // 000000007B84: D86C2240 3D000015
	ds_read_b32 v64, v21 offset:10880                          // 000000007B8C: D86C2A80 40000015
	ds_read_b32 v65, v21 offset:10944                          // 000000007B94: D86C2AC0 41000015
	s_waitcnt lgkmcnt(0)                                       // 000000007B9C: BF8CC07F
	s_mov_b32 s36, -1                                          // 000000007BA0: BEA400C1
	s_mov_b32 s37, -1                                          // 000000007BA4: BEA500C1
	v_mov_b32_e32 v7, 0                                        // 000000007BA8: 7E0E0280
	s_mov_b64 exec, s[36:37]                                   // 000000007BAC: BEFE0124
	v_mov_b32_e32 v6, v35                                      // 000000007BB0: 7E0C0323
	s_mov_b64 s[60:61], 0                                      // 000000007BB4: BEBC0180
	v_readlane_b32 s82, v3, 0                                  // 000000007BB8: D2890052 00010103
	s_and_b32 s82, s82, 0xffffff                               // 000000007BC0: 8652FF52 00FFFFFF
	s_cmp_lt_u32 s82, s66                                      // 000000007BC8: BF0A4252
	s_cselect_b32 s20, s36, s60                                // 000000007BCC: 85143C24
	v_readlane_b32 s82, v3, 1                                  // 000000007BD0: D2890052 00010303
	s_and_b32 s82, s82, 0xffffff                               // 000000007BD8: 8652FF52 00FFFFFF
	s_cmp_lt_u32 s82, s66                                      // 000000007BE0: BF0A4252
	s_cselect_b32 s21, s36, s60                                // 000000007BE4: 85153C24
	s_mov_b64 exec, s[20:21]                                   // 000000007BE8: BEFE0114
	global_atomic_add_f32 v6, v44, s[8:9]                      // 000000007BEC: DD348000 00082C06
	global_atomic_add_f32 v6, v48, s[8:9] offset:256           // 000000007BF4: DD348100 00083006
	global_atomic_add_f32 v6, v52, s[8:9] offset:512           // 000000007BFC: DD348200 00083406
	global_atomic_add_f32 v6, v56, s[8:9] offset:768           // 000000007C04: DD348300 00083806
	global_atomic_add_f32 v6, v60, s[8:9] offset:1024          // 000000007C0C: DD348400 00083C06
	global_atomic_add_f32 v6, v64, s[8:9] offset:1280          // 000000007C14: DD348500 00084006
	s_mov_b64 exec, s[36:37]                                   // 000000007C1C: BEFE0124
	v_mov_b32_e32 v6, v36                                      // 000000007C20: 7E0C0324
	s_mov_b64 s[60:61], 0                                      // 000000007C24: BEBC0180
	v_readlane_b32 s82, v3, 2                                  // 000000007C28: D2890052 00010503
	s_and_b32 s82, s82, 0xffffff                               // 000000007C30: 8652FF52 00FFFFFF
	s_cmp_lt_u32 s82, s66                                      // 000000007C38: BF0A4252
	s_cselect_b32 s20, s36, s60                                // 000000007C3C: 85143C24
	v_readlane_b32 s82, v3, 3                                  // 000000007C40: D2890052 00010703
	s_and_b32 s82, s82, 0xffffff                               // 000000007C48: 8652FF52 00FFFFFF
	s_cmp_lt_u32 s82, s66                                      // 000000007C50: BF0A4252
	s_cselect_b32 s21, s36, s60                                // 000000007C54: 85153C24
	s_mov_b64 exec, s[20:21]                                   // 000000007C58: BEFE0114
	global_atomic_add_f32 v6, v45, s[8:9]                      // 000000007C5C: DD348000 00082D06
	global_atomic_add_f32 v6, v49, s[8:9] offset:256           // 000000007C64: DD348100 00083106
	global_atomic_add_f32 v6, v53, s[8:9] offset:512           // 000000007C6C: DD348200 00083506
	global_atomic_add_f32 v6, v57, s[8:9] offset:768           // 000000007C74: DD348300 00083906
	global_atomic_add_f32 v6, v61, s[8:9] offset:1024          // 000000007C7C: DD348400 00083D06
	global_atomic_add_f32 v6, v65, s[8:9] offset:1280          // 000000007C84: DD348500 00084106
	s_mov_b64 exec, s[36:37]                                   // 000000007C8C: BEFE0124
	ds_write_b64 v20, v[46:47]                                 // 000000007C90: D89A0000 00002E14
	ds_write_b64 v20, v[50:51] offset:2176                     // 000000007C98: D89A0880 00003214
	ds_write_b64 v20, v[54:55] offset:4352                     // 000000007CA0: D89A1100 00003614
	ds_write_b64 v20, v[58:59] offset:6528                     // 000000007CA8: D89A1980 00003A14
	ds_write_b64 v20, v[62:63] offset:8704                     // 000000007CB0: D89A2200 00003E14
	ds_write_b64 v20, v[66:67] offset:10880                    // 000000007CB8: D89A2A80 00004214
	s_waitcnt lgkmcnt(0)                                       // 000000007CC0: BF8CC07F
	s_barrier                                                  // 000000007CC4: BF8A0000
	ds_read_b32 v46, v21                                       // 000000007CC8: D86C0000 2E000015
	ds_read_b32 v47, v21 offset:64                             // 000000007CD0: D86C0040 2F000015
	ds_read_b32 v50, v21 offset:2176                           // 000000007CD8: D86C0880 32000015
	ds_read_b32 v51, v21 offset:2240                           // 000000007CE0: D86C08C0 33000015
	ds_read_b32 v54, v21 offset:4352                           // 000000007CE8: D86C1100 36000015
	ds_read_b32 v55, v21 offset:4416                           // 000000007CF0: D86C1140 37000015
	ds_read_b32 v58, v21 offset:6528                           // 000000007CF8: D86C1980 3A000015
	ds_read_b32 v59, v21 offset:6592                           // 000000007D00: D86C19C0 3B000015
	ds_read_b32 v62, v21 offset:8704                           // 000000007D08: D86C2200 3E000015
	ds_read_b32 v63, v21 offset:8768                           // 000000007D10: D86C2240 3F000015
	ds_read_b32 v66, v21 offset:10880                          // 000000007D18: D86C2A80 42000015
	ds_read_b32 v67, v21 offset:10944                          // 000000007D20: D86C2AC0 43000015
	s_waitcnt lgkmcnt(0)                                       // 000000007D28: BF8CC07F
	v_mov_b32_e32 v7, 0                                        // 000000007D2C: 7E0E0280
	s_mov_b64 exec, s[36:37]                                   // 000000007D30: BEFE0124
	v_mov_b32_e32 v6, v35                                      // 000000007D34: 7E0C0323
	s_mov_b64 s[60:61], 0                                      // 000000007D38: BEBC0180
	v_readlane_b32 s82, v3, 0                                  // 000000007D3C: D2890052 00010103
	s_and_b32 s82, s82, 0xffffff                               // 000000007D44: 8652FF52 00FFFFFF
	s_cmp_lt_u32 s82, s66                                      // 000000007D4C: BF0A4252
	s_cselect_b32 s20, s36, s60                                // 000000007D50: 85143C24
	v_readlane_b32 s82, v3, 1                                  // 000000007D54: D2890052 00010303
	s_and_b32 s82, s82, 0xffffff                               // 000000007D5C: 8652FF52 00FFFFFF
	s_cmp_lt_u32 s82, s66                                      // 000000007D64: BF0A4252
	s_cselect_b32 s21, s36, s60                                // 000000007D68: 85153C24
	s_mov_b64 exec, s[20:21]                                   // 000000007D6C: BEFE0114
	global_atomic_add_f32 v6, v46, s[8:9] offset:8             // 000000007D70: DD348008 00082E06
	global_atomic_add_f32 v6, v50, s[8:9] offset:264           // 000000007D78: DD348108 00083206
	global_atomic_add_f32 v6, v54, s[8:9] offset:520           // 000000007D80: DD348208 00083606
	global_atomic_add_f32 v6, v58, s[8:9] offset:776           // 000000007D88: DD348308 00083A06
	global_atomic_add_f32 v6, v62, s[8:9] offset:1032          // 000000007D90: DD348408 00083E06
	global_atomic_add_f32 v6, v66, s[8:9] offset:1288          // 000000007D98: DD348508 00084206
	s_mov_b64 exec, s[36:37]                                   // 000000007DA0: BEFE0124
	v_mov_b32_e32 v6, v36                                      // 000000007DA4: 7E0C0324
	s_mov_b64 s[60:61], 0                                      // 000000007DA8: BEBC0180
	v_readlane_b32 s82, v3, 2                                  // 000000007DAC: D2890052 00010503
	s_and_b32 s82, s82, 0xffffff                               // 000000007DB4: 8652FF52 00FFFFFF
	s_cmp_lt_u32 s82, s66                                      // 000000007DBC: BF0A4252
	s_cselect_b32 s20, s36, s60                                // 000000007DC0: 85143C24
	v_readlane_b32 s82, v3, 3                                  // 000000007DC4: D2890052 00010703
	s_and_b32 s82, s82, 0xffffff                               // 000000007DCC: 8652FF52 00FFFFFF
	s_cmp_lt_u32 s82, s66                                      // 000000007DD4: BF0A4252
	s_cselect_b32 s21, s36, s60                                // 000000007DD8: 85153C24
	s_mov_b64 exec, s[20:21]                                   // 000000007DDC: BEFE0114
	global_atomic_add_f32 v6, v47, s[8:9] offset:8             // 000000007DE0: DD348008 00082F06
	global_atomic_add_f32 v6, v51, s[8:9] offset:264           // 000000007DE8: DD348108 00083306
	global_atomic_add_f32 v6, v55, s[8:9] offset:520           // 000000007DF0: DD348208 00083706
	global_atomic_add_f32 v6, v59, s[8:9] offset:776           // 000000007DF8: DD348308 00083B06
	global_atomic_add_f32 v6, v63, s[8:9] offset:1032          // 000000007E00: DD348408 00083F06
	global_atomic_add_f32 v6, v67, s[8:9] offset:1288          // 000000007E08: DD348508 00084306
	s_mov_b64 exec, s[36:37]                                   // 000000007E10: BEFE0124
	ds_write_b64 v20, v[68:69]                                 // 000000007E14: D89A0000 00004414
	ds_write_b64 v20, v[72:73] offset:2176                     // 000000007E1C: D89A0880 00004814
	ds_write_b64 v20, v[76:77] offset:4352                     // 000000007E24: D89A1100 00004C14
	ds_write_b64 v20, v[80:81] offset:6528                     // 000000007E2C: D89A1980 00005014
	ds_write_b64 v20, v[84:85] offset:8704                     // 000000007E34: D89A2200 00005414
	ds_write_b64 v20, v[88:89] offset:10880                    // 000000007E3C: D89A2A80 00005814
	s_waitcnt lgkmcnt(0)                                       // 000000007E44: BF8CC07F
	s_barrier                                                  // 000000007E48: BF8A0000
	ds_read_b32 v68, v21                                       // 000000007E4C: D86C0000 44000015
	ds_read_b32 v69, v21 offset:64                             // 000000007E54: D86C0040 45000015
	ds_read_b32 v72, v21 offset:2176                           // 000000007E5C: D86C0880 48000015
	ds_read_b32 v73, v21 offset:2240                           // 000000007E64: D86C08C0 49000015
	ds_read_b32 v76, v21 offset:4352                           // 000000007E6C: D86C1100 4C000015
	ds_read_b32 v77, v21 offset:4416                           // 000000007E74: D86C1140 4D000015
	ds_read_b32 v80, v21 offset:6528                           // 000000007E7C: D86C1980 50000015
	ds_read_b32 v81, v21 offset:6592                           // 000000007E84: D86C19C0 51000015
	ds_read_b32 v84, v21 offset:8704                           // 000000007E8C: D86C2200 54000015
	ds_read_b32 v85, v21 offset:8768                           // 000000007E94: D86C2240 55000015
	ds_read_b32 v88, v21 offset:10880                          // 000000007E9C: D86C2A80 58000015
	ds_read_b32 v89, v21 offset:10944                          // 000000007EA4: D86C2AC0 59000015
	s_mul_i32 s60, s65, 4                                      // 000000007EAC: 923C8441
	s_add_u32 s8, s60, s8                                      // 000000007EB0: 8008083C
	s_addc_u32 s9, 0, s9                                       // 000000007EB4: 82090980
	s_waitcnt lgkmcnt(0)                                       // 000000007EB8: BF8CC07F
	v_mov_b32_e32 v7, 0                                        // 000000007EBC: 7E0E0280
	s_mov_b64 exec, s[36:37]                                   // 000000007EC0: BEFE0124
	v_mov_b32_e32 v6, v35                                      // 000000007EC4: 7E0C0323
	s_mov_b64 s[60:61], 0                                      // 000000007EC8: BEBC0180
	v_readlane_b32 s82, v3, 0                                  // 000000007ECC: D2890052 00010103
	s_and_b32 s82, s82, 0xffffff                               // 000000007ED4: 8652FF52 00FFFFFF
	s_cmp_lt_u32 s82, s66                                      // 000000007EDC: BF0A4252
	s_cselect_b32 s20, s36, s60                                // 000000007EE0: 85143C24
	v_readlane_b32 s82, v3, 1                                  // 000000007EE4: D2890052 00010303
	s_and_b32 s82, s82, 0xffffff                               // 000000007EEC: 8652FF52 00FFFFFF
	s_cmp_lt_u32 s82, s66                                      // 000000007EF4: BF0A4252
	s_cselect_b32 s21, s36, s60                                // 000000007EF8: 85153C24
	s_mov_b64 exec, s[20:21]                                   // 000000007EFC: BEFE0114
	global_atomic_add_f32 v6, v68, s[8:9]                      // 000000007F00: DD348000 00084406
	global_atomic_add_f32 v6, v72, s[8:9] offset:256           // 000000007F08: DD348100 00084806
	global_atomic_add_f32 v6, v76, s[8:9] offset:512           // 000000007F10: DD348200 00084C06
	global_atomic_add_f32 v6, v80, s[8:9] offset:768           // 000000007F18: DD348300 00085006
	global_atomic_add_f32 v6, v84, s[8:9] offset:1024          // 000000007F20: DD348400 00085406
	global_atomic_add_f32 v6, v88, s[8:9] offset:1280          // 000000007F28: DD348500 00085806
	s_mov_b64 exec, s[36:37]                                   // 000000007F30: BEFE0124
	v_mov_b32_e32 v6, v36                                      // 000000007F34: 7E0C0324
	s_mov_b64 s[60:61], 0                                      // 000000007F38: BEBC0180
	v_readlane_b32 s82, v3, 2                                  // 000000007F3C: D2890052 00010503
	s_and_b32 s82, s82, 0xffffff                               // 000000007F44: 8652FF52 00FFFFFF
	s_cmp_lt_u32 s82, s66                                      // 000000007F4C: BF0A4252
	s_cselect_b32 s20, s36, s60                                // 000000007F50: 85143C24
	v_readlane_b32 s82, v3, 3                                  // 000000007F54: D2890052 00010703
	s_and_b32 s82, s82, 0xffffff                               // 000000007F5C: 8652FF52 00FFFFFF
	s_cmp_lt_u32 s82, s66                                      // 000000007F64: BF0A4252
	s_cselect_b32 s21, s36, s60                                // 000000007F68: 85153C24
	s_mov_b64 exec, s[20:21]                                   // 000000007F6C: BEFE0114
	global_atomic_add_f32 v6, v69, s[8:9]                      // 000000007F70: DD348000 00084506
	global_atomic_add_f32 v6, v73, s[8:9] offset:256           // 000000007F78: DD348100 00084906
	global_atomic_add_f32 v6, v77, s[8:9] offset:512           // 000000007F80: DD348200 00084D06
	global_atomic_add_f32 v6, v81, s[8:9] offset:768           // 000000007F88: DD348300 00085106
	global_atomic_add_f32 v6, v85, s[8:9] offset:1024          // 000000007F90: DD348400 00085506
	global_atomic_add_f32 v6, v89, s[8:9] offset:1280          // 000000007F98: DD348500 00085906
	s_mov_b64 exec, s[36:37]                                   // 000000007FA0: BEFE0124
	ds_write_b64 v20, v[70:71]                                 // 000000007FA4: D89A0000 00004614
	ds_write_b64 v20, v[74:75] offset:2176                     // 000000007FAC: D89A0880 00004A14
	ds_write_b64 v20, v[78:79] offset:4352                     // 000000007FB4: D89A1100 00004E14
	ds_write_b64 v20, v[82:83] offset:6528                     // 000000007FBC: D89A1980 00005214
	ds_write_b64 v20, v[86:87] offset:8704                     // 000000007FC4: D89A2200 00005614
	ds_write_b64 v20, v[90:91] offset:10880                    // 000000007FCC: D89A2A80 00005A14
	s_waitcnt lgkmcnt(0)                                       // 000000007FD4: BF8CC07F
	s_barrier                                                  // 000000007FD8: BF8A0000
	ds_read_b32 v70, v21                                       // 000000007FDC: D86C0000 46000015
	ds_read_b32 v71, v21 offset:64                             // 000000007FE4: D86C0040 47000015
	ds_read_b32 v74, v21 offset:2176                           // 000000007FEC: D86C0880 4A000015
	ds_read_b32 v75, v21 offset:2240                           // 000000007FF4: D86C08C0 4B000015
	ds_read_b32 v78, v21 offset:4352                           // 000000007FFC: D86C1100 4E000015
	ds_read_b32 v79, v21 offset:4416                           // 000000008004: D86C1140 4F000015
	ds_read_b32 v82, v21 offset:6528                           // 00000000800C: D86C1980 52000015
	ds_read_b32 v83, v21 offset:6592                           // 000000008014: D86C19C0 53000015
	ds_read_b32 v86, v21 offset:8704                           // 00000000801C: D86C2200 56000015
	ds_read_b32 v87, v21 offset:8768                           // 000000008024: D86C2240 57000015
	ds_read_b32 v90, v21 offset:10880                          // 00000000802C: D86C2A80 5A000015
	ds_read_b32 v91, v21 offset:10944                          // 000000008034: D86C2AC0 5B000015
	s_waitcnt lgkmcnt(0)                                       // 00000000803C: BF8CC07F
	v_mov_b32_e32 v7, 0                                        // 000000008040: 7E0E0280
	s_mov_b64 exec, s[36:37]                                   // 000000008044: BEFE0124
	v_mov_b32_e32 v6, v35                                      // 000000008048: 7E0C0323
	s_mov_b64 s[60:61], 0                                      // 00000000804C: BEBC0180
	v_readlane_b32 s82, v3, 0                                  // 000000008050: D2890052 00010103
	s_and_b32 s82, s82, 0xffffff                               // 000000008058: 8652FF52 00FFFFFF
	s_cmp_lt_u32 s82, s66                                      // 000000008060: BF0A4252
	s_cselect_b32 s20, s36, s60                                // 000000008064: 85143C24
	v_readlane_b32 s82, v3, 1                                  // 000000008068: D2890052 00010303
	s_and_b32 s82, s82, 0xffffff                               // 000000008070: 8652FF52 00FFFFFF
	s_cmp_lt_u32 s82, s66                                      // 000000008078: BF0A4252
	s_cselect_b32 s21, s36, s60                                // 00000000807C: 85153C24
	s_mov_b64 exec, s[20:21]                                   // 000000008080: BEFE0114
	global_atomic_add_f32 v6, v70, s[8:9] offset:8             // 000000008084: DD348008 00084606
	global_atomic_add_f32 v6, v74, s[8:9] offset:264           // 00000000808C: DD348108 00084A06
	global_atomic_add_f32 v6, v78, s[8:9] offset:520           // 000000008094: DD348208 00084E06
	global_atomic_add_f32 v6, v82, s[8:9] offset:776           // 00000000809C: DD348308 00085206
	global_atomic_add_f32 v6, v86, s[8:9] offset:1032          // 0000000080A4: DD348408 00085606
	global_atomic_add_f32 v6, v90, s[8:9] offset:1288          // 0000000080AC: DD348508 00085A06
	s_mov_b64 exec, s[36:37]                                   // 0000000080B4: BEFE0124
	v_mov_b32_e32 v6, v36                                      // 0000000080B8: 7E0C0324
	s_mov_b64 s[60:61], 0                                      // 0000000080BC: BEBC0180
	v_readlane_b32 s82, v3, 2                                  // 0000000080C0: D2890052 00010503
	s_and_b32 s82, s82, 0xffffff                               // 0000000080C8: 8652FF52 00FFFFFF
	s_cmp_lt_u32 s82, s66                                      // 0000000080D0: BF0A4252
	s_cselect_b32 s20, s36, s60                                // 0000000080D4: 85143C24
	v_readlane_b32 s82, v3, 3                                  // 0000000080D8: D2890052 00010703
	s_and_b32 s82, s82, 0xffffff                               // 0000000080E0: 8652FF52 00FFFFFF
	s_cmp_lt_u32 s82, s66                                      // 0000000080E8: BF0A4252
	s_cselect_b32 s21, s36, s60                                // 0000000080EC: 85153C24
	s_mov_b64 exec, s[20:21]                                   // 0000000080F0: BEFE0114
	global_atomic_add_f32 v6, v71, s[8:9] offset:8             // 0000000080F4: DD348008 00084706
	global_atomic_add_f32 v6, v75, s[8:9] offset:264           // 0000000080FC: DD348108 00084B06
	global_atomic_add_f32 v6, v79, s[8:9] offset:520           // 000000008104: DD348208 00084F06
	global_atomic_add_f32 v6, v83, s[8:9] offset:776           // 00000000810C: DD348308 00085306
	global_atomic_add_f32 v6, v87, s[8:9] offset:1032          // 000000008114: DD348408 00085706
	global_atomic_add_f32 v6, v91, s[8:9] offset:1288          // 00000000811C: DD348508 00085B06
	s_mov_b64 exec, s[36:37]                                   // 000000008124: BEFE0124
	s_branch label_154E                                        // 000000008128: BF820000

000000000000812c <label_154E>:
	s_waitcnt vmcnt(0) expcnt(0) lgkmcnt(0)                    // 00000000812C: BF8C0000
	s_endpgm                                                   // 000000008130: BF810000
